;; amdgpu-corpus repo=ROCm/rocFFT kind=compiled arch=gfx906 opt=O3
	.text
	.amdgcn_target "amdgcn-amd-amdhsa--gfx906"
	.amdhsa_code_object_version 6
	.protected	bluestein_single_fwd_len594_dim1_half_op_CI_CI ; -- Begin function bluestein_single_fwd_len594_dim1_half_op_CI_CI
	.globl	bluestein_single_fwd_len594_dim1_half_op_CI_CI
	.p2align	8
	.type	bluestein_single_fwd_len594_dim1_half_op_CI_CI,@function
bluestein_single_fwd_len594_dim1_half_op_CI_CI: ; @bluestein_single_fwd_len594_dim1_half_op_CI_CI
; %bb.0:
	s_load_dwordx4 s[0:3], s[4:5], 0x28
	v_mul_u32_u24_e32 v1, 0x296, v0
	v_add_u32_sdwa v4, s6, v1 dst_sel:DWORD dst_unused:UNUSED_PAD src0_sel:DWORD src1_sel:WORD_1
	v_mov_b32_e32 v5, 0
	s_waitcnt lgkmcnt(0)
	v_cmp_gt_u64_e32 vcc, s[0:1], v[4:5]
	s_and_saveexec_b64 s[0:1], vcc
	s_cbranch_execz .LBB0_15
; %bb.1:
	s_load_dwordx2 s[6:7], s[4:5], 0x0
	s_load_dwordx2 s[12:13], s[4:5], 0x38
	s_movk_i32 s0, 0x63
	v_mul_lo_u16_sdwa v1, v1, s0 dst_sel:DWORD dst_unused:UNUSED_PAD src0_sel:WORD_1 src1_sel:DWORD
	v_sub_u16_e32 v24, v0, v1
	v_cmp_gt_u16_e64 s[0:1], 54, v24
	v_lshlrev_b32_e32 v23, 2, v24
	s_and_saveexec_b64 s[8:9], s[0:1]
	s_cbranch_execz .LBB0_3
; %bb.2:
	s_load_dwordx2 s[10:11], s[4:5], 0x18
	s_waitcnt lgkmcnt(0)
	s_load_dwordx4 s[16:19], s[10:11], 0x0
	s_waitcnt lgkmcnt(0)
	v_mad_u64_u32 v[0:1], s[10:11], s18, v4, 0
	v_mad_u64_u32 v[2:3], s[10:11], s16, v24, 0
	;; [unrolled: 1-line block ×4, first 2 shown]
	v_mov_b32_e32 v1, v5
	v_lshlrev_b64 v[0:1], 2, v[0:1]
	v_mov_b32_e32 v3, v6
	v_mov_b32_e32 v7, s3
	v_lshlrev_b64 v[2:3], 2, v[2:3]
	v_add_co_u32_e32 v0, vcc, s2, v0
	v_addc_co_u32_e32 v1, vcc, v7, v1, vcc
	v_add_co_u32_e32 v0, vcc, v0, v2
	v_addc_co_u32_e32 v1, vcc, v1, v3, vcc
	s_mul_i32 s2, s17, 0xd8
	s_mul_hi_u32 s3, s16, 0xd8
	global_load_dword v2, v[0:1], off
	s_add_i32 s2, s3, s2
	s_mul_i32 s3, s16, 0xd8
	global_load_dword v5, v23, s[6:7]
	v_mov_b32_e32 v3, s2
	v_add_co_u32_e32 v0, vcc, s3, v0
	v_addc_co_u32_e32 v1, vcc, v1, v3, vcc
	global_load_dword v3, v[0:1], off
	global_load_dword v6, v23, s[6:7] offset:216
	v_mov_b32_e32 v7, s2
	v_add_co_u32_e32 v0, vcc, s3, v0
	v_addc_co_u32_e32 v1, vcc, v1, v7, vcc
	global_load_dword v7, v[0:1], off
	global_load_dword v9, v23, s[6:7] offset:432
	v_mov_b32_e32 v8, s2
	v_add_co_u32_e32 v0, vcc, s3, v0
	v_addc_co_u32_e32 v1, vcc, v1, v8, vcc
	global_load_dword v8, v23, s[6:7] offset:648
	global_load_dword v10, v[0:1], off
	v_mov_b32_e32 v11, s2
	v_add_co_u32_e32 v0, vcc, s3, v0
	v_addc_co_u32_e32 v1, vcc, v1, v11, vcc
	global_load_dword v11, v[0:1], off
	global_load_dword v13, v23, s[6:7] offset:864
	v_mov_b32_e32 v12, s2
	v_add_co_u32_e32 v0, vcc, s3, v0
	v_addc_co_u32_e32 v1, vcc, v1, v12, vcc
	global_load_dword v12, v[0:1], off
	global_load_dword v14, v23, s[6:7] offset:1080
	;; [unrolled: 5-line block ×7, first 2 shown]
	s_waitcnt vmcnt(21)
	v_lshrrev_b32_e32 v0, 16, v2
	s_waitcnt vmcnt(20)
	v_mul_f16_sdwa v1, v5, v2 dst_sel:DWORD dst_unused:UNUSED_PAD src0_sel:WORD_1 src1_sel:DWORD
	v_fma_f16 v1, v5, v0, -v1
	v_mul_f16_sdwa v0, v5, v0 dst_sel:DWORD dst_unused:UNUSED_PAD src0_sel:WORD_1 src1_sel:DWORD
	v_fma_f16 v0, v5, v2, v0
	v_pack_b32_f16 v0, v0, v1
	s_waitcnt vmcnt(19)
	v_lshrrev_b32_e32 v27, 16, v3
	s_waitcnt vmcnt(18)
	v_mul_f16_sdwa v1, v6, v27 dst_sel:DWORD dst_unused:UNUSED_PAD src0_sel:WORD_1 src1_sel:DWORD
	v_mul_f16_sdwa v2, v6, v3 dst_sel:DWORD dst_unused:UNUSED_PAD src0_sel:WORD_1 src1_sel:DWORD
	v_fma_f16 v1, v6, v3, v1
	v_fma_f16 v2, v6, v27, -v2
	v_pack_b32_f16 v1, v1, v2
	ds_write2_b32 v23, v0, v1 offset1:54
	s_waitcnt vmcnt(17)
	v_lshrrev_b32_e32 v0, 16, v7
	s_waitcnt vmcnt(16)
	v_mul_f16_sdwa v1, v9, v0 dst_sel:DWORD dst_unused:UNUSED_PAD src0_sel:WORD_1 src1_sel:DWORD
	v_mul_f16_sdwa v2, v9, v7 dst_sel:DWORD dst_unused:UNUSED_PAD src0_sel:WORD_1 src1_sel:DWORD
	v_fma_f16 v1, v9, v7, v1
	v_fma_f16 v0, v9, v0, -v2
	v_pack_b32_f16 v0, v1, v0
	s_waitcnt vmcnt(14)
	v_lshrrev_b32_e32 v1, 16, v10
	v_mul_f16_sdwa v2, v8, v1 dst_sel:DWORD dst_unused:UNUSED_PAD src0_sel:WORD_1 src1_sel:DWORD
	v_mul_f16_sdwa v3, v8, v10 dst_sel:DWORD dst_unused:UNUSED_PAD src0_sel:WORD_1 src1_sel:DWORD
	v_fma_f16 v2, v8, v10, v2
	v_fma_f16 v1, v8, v1, -v3
	v_pack_b32_f16 v1, v2, v1
	ds_write2_b32 v23, v0, v1 offset0:108 offset1:162
	s_waitcnt vmcnt(13)
	v_lshrrev_b32_e32 v0, 16, v11
	s_waitcnt vmcnt(12)
	v_mul_f16_sdwa v1, v13, v0 dst_sel:DWORD dst_unused:UNUSED_PAD src0_sel:WORD_1 src1_sel:DWORD
	v_mul_f16_sdwa v2, v13, v11 dst_sel:DWORD dst_unused:UNUSED_PAD src0_sel:WORD_1 src1_sel:DWORD
	v_fma_f16 v1, v13, v11, v1
	v_fma_f16 v0, v13, v0, -v2
	v_pack_b32_f16 v0, v1, v0
	s_waitcnt vmcnt(11)
	v_lshrrev_b32_e32 v1, 16, v12
	s_waitcnt vmcnt(10)
	v_mul_f16_sdwa v2, v14, v1 dst_sel:DWORD dst_unused:UNUSED_PAD src0_sel:WORD_1 src1_sel:DWORD
	v_mul_f16_sdwa v3, v14, v12 dst_sel:DWORD dst_unused:UNUSED_PAD src0_sel:WORD_1 src1_sel:DWORD
	v_fma_f16 v2, v14, v12, v2
	v_fma_f16 v1, v14, v1, -v3
	v_pack_b32_f16 v1, v2, v1
	v_add_u32_e32 v2, 0x200, v23
	ds_write2_b32 v2, v0, v1 offset0:88 offset1:142
	s_waitcnt vmcnt(9)
	v_lshrrev_b32_e32 v0, 16, v15
	s_waitcnt vmcnt(8)
	v_mul_f16_sdwa v1, v17, v0 dst_sel:DWORD dst_unused:UNUSED_PAD src0_sel:WORD_1 src1_sel:DWORD
	v_mul_f16_sdwa v2, v17, v15 dst_sel:DWORD dst_unused:UNUSED_PAD src0_sel:WORD_1 src1_sel:DWORD
	v_fma_f16 v1, v17, v15, v1
	v_fma_f16 v0, v17, v0, -v2
	v_pack_b32_f16 v0, v1, v0
	s_waitcnt vmcnt(7)
	v_lshrrev_b32_e32 v1, 16, v16
	s_waitcnt vmcnt(6)
	v_mul_f16_sdwa v2, v18, v1 dst_sel:DWORD dst_unused:UNUSED_PAD src0_sel:WORD_1 src1_sel:DWORD
	v_mul_f16_sdwa v3, v18, v16 dst_sel:DWORD dst_unused:UNUSED_PAD src0_sel:WORD_1 src1_sel:DWORD
	v_fma_f16 v2, v18, v16, v2
	v_fma_f16 v1, v18, v1, -v3
	v_pack_b32_f16 v1, v2, v1
	v_add_u32_e32 v2, 0x400, v23
	ds_write2_b32 v2, v0, v1 offset0:68 offset1:122
	s_waitcnt vmcnt(5)
	v_lshrrev_b32_e32 v0, 16, v19
	s_waitcnt vmcnt(4)
	v_mul_f16_sdwa v1, v20, v0 dst_sel:DWORD dst_unused:UNUSED_PAD src0_sel:WORD_1 src1_sel:DWORD
	v_mul_f16_sdwa v3, v20, v19 dst_sel:DWORD dst_unused:UNUSED_PAD src0_sel:WORD_1 src1_sel:DWORD
	v_fma_f16 v1, v20, v19, v1
	v_fma_f16 v0, v20, v0, -v3
	v_pack_b32_f16 v0, v1, v0
	s_waitcnt vmcnt(3)
	v_lshrrev_b32_e32 v1, 16, v21
	s_waitcnt vmcnt(2)
	v_mul_f16_sdwa v3, v22, v1 dst_sel:DWORD dst_unused:UNUSED_PAD src0_sel:WORD_1 src1_sel:DWORD
	v_mul_f16_sdwa v5, v22, v21 dst_sel:DWORD dst_unused:UNUSED_PAD src0_sel:WORD_1 src1_sel:DWORD
	v_fma_f16 v3, v22, v21, v3
	v_fma_f16 v1, v22, v1, -v5
	v_pack_b32_f16 v1, v3, v1
	ds_write2_b32 v2, v0, v1 offset0:176 offset1:230
	s_waitcnt vmcnt(1)
	v_lshrrev_b32_e32 v0, 16, v25
	s_waitcnt vmcnt(0)
	v_mul_f16_sdwa v1, v26, v0 dst_sel:DWORD dst_unused:UNUSED_PAD src0_sel:WORD_1 src1_sel:DWORD
	v_mul_f16_sdwa v2, v26, v25 dst_sel:DWORD dst_unused:UNUSED_PAD src0_sel:WORD_1 src1_sel:DWORD
	v_fma_f16 v1, v26, v25, v1
	v_fma_f16 v0, v26, v0, -v2
	v_pack_b32_f16 v0, v1, v0
	ds_write_b32 v23, v0 offset:2160
.LBB0_3:
	s_or_b64 exec, exec, s[8:9]
	s_load_dwordx2 s[8:9], s[4:5], 0x20
	s_load_dwordx2 s[2:3], s[4:5], 0x8
	v_mov_b32_e32 v0, 0
	s_waitcnt lgkmcnt(0)
	s_barrier
	s_waitcnt lgkmcnt(0)
                                        ; implicit-def: $vgpr15
                                        ; implicit-def: $vgpr3
                                        ; implicit-def: $vgpr14
                                        ; implicit-def: $vgpr12
                                        ; implicit-def: $vgpr10
	s_and_saveexec_b64 s[4:5], s[0:1]
	s_cbranch_execz .LBB0_5
; %bb.4:
	v_add_u32_e32 v2, 0x200, v23
	ds_read2_b32 v[0:1], v23 offset1:54
	ds_read2_b32 v[9:10], v23 offset0:108 offset1:162
	ds_read2_b32 v[11:12], v2 offset0:88 offset1:142
	v_add_u32_e32 v2, 0x400, v23
	ds_read2_b32 v[13:14], v2 offset0:68 offset1:122
	ds_read2_b32 v[2:3], v2 offset0:176 offset1:230
	ds_read_b32 v15, v23 offset:2160
.LBB0_5:
	s_or_b64 exec, exec, s[4:5]
	s_waitcnt lgkmcnt(0)
	v_pk_add_f16 v7, v1, v15 neg_lo:[0,1] neg_hi:[0,1]
	s_mov_b32 s11, 0xba0c
	v_pk_add_f16 v19, v15, v1
	s_mov_b32 s10, 0xb93d
	v_mul_f16_sdwa v16, v7, s11 dst_sel:DWORD dst_unused:UNUSED_PAD src0_sel:WORD_1 src1_sel:DWORD
	v_pk_add_f16 v8, v9, v3 neg_lo:[0,1] neg_hi:[0,1]
	s_movk_i32 s17, 0x3beb
	s_mov_b32 s5, 0xb08e
	v_fma_f16 v5, v19, s10, v16
	s_mov_b32 s16, 0xb482
	v_pk_add_f16 v22, v3, v9
	v_mul_f16_sdwa v18, v8, s17 dst_sel:DWORD dst_unused:UNUSED_PAD src0_sel:WORD_1 src1_sel:DWORD
	v_add_f16_e32 v5, v5, v0
	s_mov_b32 s15, 0xbbad
	v_mul_f16_sdwa v17, v7, s16 dst_sel:DWORD dst_unused:UNUSED_PAD src0_sel:WORD_1 src1_sel:DWORD
	v_fma_f16 v20, v22, s5, v18
	s_movk_i32 s17, 0x3853
	s_movk_i32 s4, 0x3abb
	v_fma_f16 v6, v19, s15, v17
	v_add_f16_e32 v5, v20, v5
	v_mul_f16_sdwa v20, v8, s17 dst_sel:DWORD dst_unused:UNUSED_PAD src0_sel:WORD_1 src1_sel:DWORD
	s_mov_b32 s14, 0xb853
	v_add_f16_e32 v6, v6, v0
	v_fma_f16 v21, v22, s4, v20
	v_pk_add_f16 v26, v10, v2 neg_lo:[0,1] neg_hi:[0,1]
	v_add_f16_e32 v6, v21, v6
	v_pk_add_f16 v34, v2, v10
	v_mul_f16_sdwa v21, v26, s14 dst_sel:DWORD dst_unused:UNUSED_PAD src0_sel:WORD_1 src1_sel:DWORD
	v_fma_f16 v25, v34, s4, v21
	v_add_f16_e32 v5, v25, v5
	v_mul_f16_sdwa v25, v26, s11 dst_sel:DWORD dst_unused:UNUSED_PAD src0_sel:WORD_1 src1_sel:DWORD
	v_fma_f16 v27, v34, s10, v25
	v_add_f16_e32 v6, v27, v6
	v_pk_add_f16 v27, v11, v14 neg_lo:[0,1] neg_hi:[0,1]
	v_pk_add_f16 v37, v14, v11
	v_mul_f16_sdwa v33, v27, s16 dst_sel:DWORD dst_unused:UNUSED_PAD src0_sel:WORD_1 src1_sel:DWORD
	s_movk_i32 s18, 0x3b47
	v_fma_f16 v28, v37, s15, v33
	s_movk_i32 s17, 0x36a6
	v_mul_f16_sdwa v38, v27, s18 dst_sel:DWORD dst_unused:UNUSED_PAD src0_sel:WORD_1 src1_sel:DWORD
	v_pk_add_f16 v31, v12, v13 neg_lo:[0,1] neg_hi:[0,1]
	v_add_f16_e32 v5, v28, v5
	v_fma_f16 v28, v37, s17, v38
	s_mov_b32 s19, 0xbbeb
	v_pk_add_f16 v42, v13, v12
	v_mul_f16_sdwa v41, v31, s18 dst_sel:DWORD dst_unused:UNUSED_PAD src0_sel:WORD_1 src1_sel:DWORD
	v_add_f16_e32 v28, v28, v6
	v_fma_f16 v6, v42, s17, v41
	v_mul_f16_sdwa v50, v31, s19 dst_sel:DWORD dst_unused:UNUSED_PAD src0_sel:WORD_1 src1_sel:DWORD
	v_add_f16_e32 v6, v6, v5
	v_fma_f16 v5, v42, s5, v50
	v_mul_f16_sdwa v35, v7, s14 dst_sel:DWORD dst_unused:UNUSED_PAD src0_sel:WORD_1 src1_sel:DWORD
	s_mov_b32 s20, 0xbb47
	v_add_f16_e32 v5, v5, v28
	v_fma_f16 v28, v19, s4, v35
	v_mul_f16_sdwa v36, v8, s20 dst_sel:DWORD dst_unused:UNUSED_PAD src0_sel:WORD_1 src1_sel:DWORD
	v_add_f16_e32 v28, v28, v0
	v_fma_f16 v29, v22, s17, v36
	v_lshrrev_b32_e32 v71, 16, v19
	v_mul_f16_e32 v39, 0xbb47, v7
	v_add_f16_e32 v28, v29, v28
	v_fma_f16 v29, v71, s17, -v39
	v_lshrrev_b32_e32 v67, 16, v22
	v_mul_f16_e32 v40, 0xba0c, v8
	v_add_f16_sdwa v29, v29, v0 dst_sel:DWORD dst_unused:UNUSED_PAD src0_sel:DWORD src1_sel:WORD_1
	v_fma_f16 v30, v67, s10, -v40
	v_mul_f16_sdwa v43, v7, s19 dst_sel:DWORD dst_unused:UNUSED_PAD src0_sel:WORD_1 src1_sel:DWORD
	s_movk_i32 s20, 0x3482
	v_add_f16_e32 v29, v30, v29
	v_fma_f16 v30, v19, s5, v43
	v_mul_f16_sdwa v46, v8, s20 dst_sel:DWORD dst_unused:UNUSED_PAD src0_sel:WORD_1 src1_sel:DWORD
	v_add_f16_e32 v30, v30, v0
	v_fma_f16 v32, v22, s15, v46
	v_mul_f16_e32 v51, 0xbbeb, v7
	v_add_f16_e32 v30, v32, v30
	v_fma_f16 v32, v71, s5, -v51
	v_mul_f16_e32 v52, 0x3482, v8
	v_add_f16_sdwa v32, v32, v0 dst_sel:DWORD dst_unused:UNUSED_PAD src0_sel:DWORD src1_sel:WORD_1
	v_fma_f16 v44, v67, s15, -v52
	v_mul_f16_e32 v58, 0xba0c, v7
	v_add_f16_e32 v32, v44, v32
	v_fma_f16 v44, v71, s10, -v58
	v_mul_f16_e32 v59, 0x3beb, v8
	v_add_f16_sdwa v44, v44, v0 dst_sel:DWORD dst_unused:UNUSED_PAD src0_sel:DWORD src1_sel:WORD_1
	v_fma_f16 v45, v67, s5, -v59
	s_mov_b32 s20, 0x3abb36a6
	v_add_f16_e32 v54, v45, v44
	s_mov_b32 s21, 0xbb47b853
	v_pk_mul_f16 v45, v19, s20
	v_mul_f16_e32 v69, 0xb482, v7
	s_mov_b32 s20, 0x36a6b93d
	v_pk_fma_f16 v44, v7, s21, v45 op_sel:[0,0,1] op_sel_hi:[1,1,0] neg_lo:[1,0,0] neg_hi:[1,0,0]
	v_pk_fma_f16 v45, v7, s21, v45 op_sel:[0,0,1] op_sel_hi:[1,1,0]
	v_fma_f16 v7, v71, s15, -v69
	s_mov_b32 s21, 0xba0cbb47
	v_pk_mul_f16 v47, v22, s20
	v_mul_f16_e32 v72, 0x3853, v8
	v_add_f16_sdwa v7, v7, v0 dst_sel:DWORD dst_unused:UNUSED_PAD src0_sel:DWORD src1_sel:WORD_1
	v_pk_fma_f16 v48, v8, s21, v47 op_sel:[0,0,1] op_sel_hi:[1,1,0] neg_lo:[1,0,0] neg_hi:[1,0,0]
	v_pk_fma_f16 v49, v8, s21, v47 op_sel:[0,0,1] op_sel_hi:[1,1,0]
	v_fma_f16 v8, v67, s4, -v72
	v_mul_f16_sdwa v47, v26, s19 dst_sel:DWORD dst_unused:UNUSED_PAD src0_sel:WORD_1 src1_sel:DWORD
	v_add_f16_e32 v7, v8, v7
	v_fma_f16 v8, v34, s5, v47
	v_lshrrev_b32_e32 v79, 16, v34
	v_mul_f16_e32 v53, 0x3482, v26
	v_add_f16_e32 v8, v8, v28
	v_fma_f16 v28, v79, s15, -v53
	v_mul_f16_sdwa v57, v26, s18 dst_sel:DWORD dst_unused:UNUSED_PAD src0_sel:WORD_1 src1_sel:DWORD
	v_add_f16_e32 v28, v28, v29
	v_fma_f16 v29, v34, s17, v57
	v_mul_f16_e32 v62, 0x3b47, v26
	v_add_f16_e32 v29, v29, v30
	v_fma_f16 v30, v79, s17, -v62
	v_mul_f16_e32 v70, 0xb853, v26
	v_add_f16_e32 v30, v30, v32
	v_fma_f16 v32, v79, s4, -v70
	s_mov_b32 s18, 0xb08ebbad
	v_add_f16_e32 v32, v32, v54
	s_mov_b32 s19, 0x3482bbeb
	v_pk_mul_f16 v54, v34, s18
	v_mul_f16_e32 v77, 0xba0c, v26
	v_pk_fma_f16 v55, v26, s19, v54 op_sel:[0,0,1] op_sel_hi:[1,1,0] neg_lo:[1,0,0] neg_hi:[1,0,0]
	v_pk_fma_f16 v56, v26, s19, v54 op_sel:[0,0,1] op_sel_hi:[1,1,0]
	v_fma_f16 v26, v79, s10, -v77
	v_mul_f16_sdwa v54, v27, s11 dst_sel:DWORD dst_unused:UNUSED_PAD src0_sel:WORD_1 src1_sel:DWORD
	v_add_f16_e32 v7, v26, v7
	v_fma_f16 v26, v37, s10, v54
	v_lshrrev_b32_e32 v80, 16, v37
	v_mul_f16_e32 v60, 0x3beb, v27
	v_add_f16_e32 v8, v26, v8
	v_fma_f16 v26, v80, s5, -v60
	v_mul_f16_sdwa v65, v27, s14 dst_sel:DWORD dst_unused:UNUSED_PAD src0_sel:WORD_1 src1_sel:DWORD
	v_add_f16_e32 v26, v26, v28
	v_fma_f16 v28, v37, s4, v65
	v_mul_f16_e32 v68, 0xb853, v27
	v_add_f16_e32 v28, v28, v29
	v_fma_f16 v29, v80, s4, -v68
	v_mul_f16_e32 v76, 0xb482, v27
	v_add_f16_e32 v29, v29, v30
	v_fma_f16 v30, v80, s15, -v76
	s_mov_b32 s14, 0xb93db08e
	v_add_f16_e32 v30, v30, v32
	s_mov_b32 s18, 0x3bebba0c
	v_pk_mul_f16 v32, v37, s14
	v_mul_f16_e32 v81, 0x3b47, v27
	v_pk_fma_f16 v63, v27, s18, v32 op_sel:[0,0,1] op_sel_hi:[1,1,0] neg_lo:[1,0,0] neg_hi:[1,0,0]
	v_pk_fma_f16 v64, v27, s18, v32 op_sel:[0,0,1] op_sel_hi:[1,1,0]
	v_fma_f16 v27, v80, s17, -v81
	v_mul_f16_sdwa v61, v31, s16 dst_sel:DWORD dst_unused:UNUSED_PAD src0_sel:WORD_1 src1_sel:DWORD
	v_add_f16_e32 v32, v27, v7
	v_fma_f16 v7, v42, s15, v61
	v_add_f16_e32 v27, v7, v8
	v_add_f16_sdwa v7, v45, v0 dst_sel:DWORD dst_unused:UNUSED_PAD src0_sel:WORD_1 src1_sel:DWORD
	v_add_f16_sdwa v7, v49, v7 dst_sel:DWORD dst_unused:UNUSED_PAD src0_sel:WORD_1 src1_sel:DWORD
	;; [unrolled: 1-line block ×3, first 2 shown]
	v_mul_f16_sdwa v75, v31, s11 dst_sel:DWORD dst_unused:UNUSED_PAD src0_sel:WORD_1 src1_sel:DWORD
	v_add_f16_sdwa v8, v64, v7 dst_sel:DWORD dst_unused:UNUSED_PAD src0_sel:WORD_1 src1_sel:DWORD
	v_fma_f16 v7, v42, s10, v75
	v_lshrrev_b32_e32 v83, 16, v42
	v_mul_f16_e32 v73, 0x3853, v31
	v_add_f16_e32 v7, v7, v28
	v_fma_f16 v28, v83, s4, -v73
	v_mul_f16_e32 v78, 0xba0c, v31
	v_add_f16_e32 v28, v28, v26
	v_fma_f16 v26, v83, s10, -v78
	v_mul_f16_e32 v82, 0x3b47, v31
	s_mov_b32 s14, 0xbbad3abb
	v_add_f16_e32 v29, v26, v29
	v_fma_f16 v26, v83, s17, -v82
	v_mul_f16_e32 v84, 0xbbeb, v31
	s_mov_b32 s15, 0x3853b482
	v_pk_mul_f16 v74, v42, s14
	v_add_f16_e32 v30, v26, v30
	v_fma_f16 v26, v83, s5, -v84
	v_pk_fma_f16 v66, v31, s15, v74 op_sel:[0,0,1] op_sel_hi:[1,1,0]
	v_pk_fma_f16 v74, v31, s15, v74 op_sel:[0,0,1] op_sel_hi:[1,1,0] neg_lo:[1,0,0] neg_hi:[1,0,0]
	v_add_f16_e32 v31, v26, v32
	v_add_f16_sdwa v26, v44, v0 dst_sel:DWORD dst_unused:UNUSED_PAD src0_sel:DWORD src1_sel:WORD_1
	v_add_f16_e32 v26, v48, v26
	v_add_f16_e32 v26, v55, v26
	;; [unrolled: 1-line block ×3, first 2 shown]
	v_add_f16_sdwa v8, v66, v8 dst_sel:DWORD dst_unused:UNUSED_PAD src0_sel:WORD_1 src1_sel:DWORD
	v_add_f16_e32 v32, v74, v26
	v_mul_lo_u16_e32 v26, 11, v24
	s_barrier
	s_and_saveexec_b64 s[4:5], s[0:1]
	s_cbranch_execz .LBB0_7
; %bb.6:
	v_mul_f16_e32 v85, 0x3abb, v19
	v_mul_f16_e32 v87, 0xb08e, v19
	;; [unrolled: 1-line block ×8, first 2 shown]
	v_sub_f16_e32 v17, v19, v17
	v_mul_f16_e32 v97, 0xb08e, v34
	v_mul_f16_e32 v99, 0x36a6, v34
	v_mul_f16_e32 v101, 0x3abb, v34
	v_mul_f16_e32 v34, 0xb93d, v34
	v_add_f16_e32 v17, v17, v0
	v_sub_f16_e32 v19, v22, v20
	v_mul_f16_e32 v103, 0xb93d, v37
	v_mul_f16_e32 v105, 0x3abb, v37
	v_mul_f16_e32 v107, 0xbbad, v37
	v_mul_f16_e32 v37, 0x36a6, v37
	v_add_f16_e32 v17, v19, v17
	;; [unrolled: 6-line block ×3, first 2 shown]
	v_sub_f16_e32 v19, v37, v38
	v_mul_f16_e32 v90, 0xb93d, v71
	v_add_f16_e32 v17, v19, v17
	v_sub_f16_e32 v19, v42, v50
	v_sub_f16_e32 v16, v89, v16
	v_mul_f16_e32 v96, 0xb08e, v67
	v_add_f16_e32 v17, v19, v17
	v_add_f16_e32 v19, v58, v90
	;; [unrolled: 1-line block ×3, first 2 shown]
	v_sub_f16_e32 v18, v95, v18
	v_mul_f16_e32 v102, 0x3abb, v79
	v_add_f16_sdwa v19, v19, v0 dst_sel:DWORD dst_unused:UNUSED_PAD src0_sel:DWORD src1_sel:WORD_1
	v_add_f16_e32 v20, v59, v96
	v_add_f16_e32 v16, v18, v16
	v_sub_f16_e32 v18, v101, v21
	v_mul_f16_e32 v108, 0xbbad, v80
	v_add_f16_e32 v19, v20, v19
	v_add_f16_e32 v20, v70, v102
	;; [unrolled: 1-line block ×3, first 2 shown]
	v_sub_f16_e32 v18, v107, v33
	v_mul_f16_e32 v88, 0xb08e, v71
	v_mul_f16_e32 v114, 0x36a6, v83
	v_add_f16_e32 v19, v20, v19
	v_add_f16_e32 v20, v76, v108
	v_add_f16_e32 v16, v18, v16
	v_sub_f16_e32 v18, v113, v41
	v_mul_f16_e32 v94, 0xbbad, v67
	v_add_f16_e32 v19, v20, v19
	v_add_f16_e32 v20, v82, v114
	;; [unrolled: 1-line block ×4, first 2 shown]
	v_mul_f16_e32 v100, 0x36a6, v79
	v_add_f16_e32 v19, v20, v19
	v_add_f16_sdwa v18, v18, v0 dst_sel:DWORD dst_unused:UNUSED_PAD src0_sel:DWORD src1_sel:WORD_1
	v_add_f16_e32 v20, v52, v94
	v_mul_f16_e32 v106, 0x3abb, v80
	v_add_f16_e32 v18, v20, v18
	v_add_f16_e32 v20, v62, v100
	v_mul_f16_e32 v112, 0xb93d, v83
	v_add_f16_e32 v18, v20, v18
	v_add_f16_e32 v20, v68, v106
	;; [unrolled: 1-line block ×5, first 2 shown]
	v_sub_f16_e32 v20, v87, v43
	v_add_f16_e32 v20, v20, v0
	v_sub_f16_e32 v21, v93, v46
	v_add_f16_e32 v20, v21, v20
	;; [unrolled: 2-line block ×3, first 2 shown]
	v_sub_f16_e32 v21, v105, v65
	v_mul_f16_e32 v86, 0x36a6, v71
	v_add_f16_e32 v20, v21, v20
	v_sub_f16_e32 v21, v111, v75
	v_mul_f16_e32 v92, 0xb93d, v67
	v_add_f16_e32 v20, v21, v20
	v_add_f16_e32 v21, v39, v86
	v_mul_f16_e32 v98, 0xbbad, v79
	v_add_f16_sdwa v21, v21, v0 dst_sel:DWORD dst_unused:UNUSED_PAD src0_sel:DWORD src1_sel:WORD_1
	v_add_f16_e32 v22, v40, v92
	v_pk_add_f16 v1, v1, v0
	v_mul_f16_e32 v104, 0xb08e, v80
	v_add_f16_e32 v21, v22, v21
	v_add_f16_e32 v22, v53, v98
	v_pk_add_f16 v1, v9, v1
	v_mul_f16_e32 v110, 0x3abb, v83
	v_add_f16_e32 v21, v22, v21
	;; [unrolled: 4-line block ×3, first 2 shown]
	v_add_f16_e32 v22, v73, v110
	s_mov_b32 s10, 0xffff
	v_pk_add_f16 v1, v11, v1
	v_add_f16_e32 v69, v69, v71
	v_add_f16_e32 v21, v22, v21
	v_bfi_b32 v22, s10, v45, v44
	v_sub_f16_e32 v35, v85, v35
	v_pk_add_f16 v1, v12, v1
	v_add_f16_sdwa v69, v69, v0 dst_sel:DWORD dst_unused:UNUSED_PAD src0_sel:DWORD src1_sel:WORD_1
	v_bfi_b32 v25, s10, v49, v48
	v_add_f16_e32 v35, v35, v0
	v_sub_f16_e32 v36, v91, v36
	v_pk_add_f16 v1, v13, v1
	v_pk_add_f16 v0, v22, v0 op_sel:[0,1] op_sel_hi:[1,0]
	v_mul_f16_e32 v67, 0x3abb, v67
	v_bfi_b32 v33, s10, v56, v55
	v_add_f16_e32 v35, v36, v35
	v_sub_f16_e32 v36, v97, v47
	v_pk_add_f16 v1, v14, v1
	v_pk_add_f16 v0, v25, v0
	v_mul_f16_e32 v79, 0xb93d, v79
	v_add_f16_e32 v67, v72, v67
	v_bfi_b32 v34, s10, v64, v63
	v_add_f16_e32 v35, v36, v35
	v_sub_f16_e32 v36, v103, v54
	v_pk_add_f16 v1, v2, v1
	v_pk_add_f16 v0, v33, v0
	v_mul_f16_e32 v80, 0x36a6, v80
	v_add_f16_e32 v67, v67, v69
	v_add_f16_e32 v69, v77, v79
	v_bfi_b32 v37, s10, v66, v74
	v_add_f16_e32 v35, v36, v35
	v_sub_f16_e32 v36, v109, v61
	v_pk_add_f16 v1, v3, v1
	v_pk_add_f16 v0, v34, v0
	v_mul_f16_e32 v83, 0xb08e, v83
	v_add_f16_e32 v67, v69, v67
	v_add_f16_e32 v69, v81, v80
	;; [unrolled: 1-line block ×3, first 2 shown]
	v_lshlrev_b32_e32 v36, 2, v26
	v_pk_add_f16 v1, v15, v1
	v_pk_add_f16 v0, v37, v0
	v_add_f16_e32 v67, v69, v67
	v_add_f16_e32 v69, v84, v83
	ds_write_b32 v36, v1
	v_alignbit_b32 v1, v21, v0, 16
	v_pack_b32_f16 v0, v35, v0
	v_add_f16_e32 v67, v69, v67
	ds_write2_b32 v36, v0, v1 offset0:1 offset1:2
	v_pack_b32_f16 v0, v16, v19
	v_pack_b32_f16 v1, v20, v18
	s_mov_b32 s10, 0x5040100
	ds_write2_b32 v36, v1, v0 offset0:3 offset1:4
	v_pack_b32_f16 v0, v17, v67
	v_perm_b32 v1, v31, v5, s10
	ds_write2_b32 v36, v0, v1 offset0:5 offset1:6
	v_perm_b32 v0, v29, v7, s10
	v_perm_b32 v1, v30, v6, s10
	ds_write2_b32 v36, v1, v0 offset0:7 offset1:8
	v_perm_b32 v0, v32, v27, s10
	v_perm_b32 v1, v28, v8, s10
	ds_write2_b32 v36, v1, v0 offset0:9 offset1:10
.LBB0_7:
	s_or_b64 exec, exec, s[4:5]
	s_movk_i32 s4, 0x75
	v_mul_lo_u16_sdwa v0, v24, s4 dst_sel:DWORD dst_unused:UNUSED_PAD src0_sel:BYTE_0 src1_sel:DWORD
	v_sub_u16_sdwa v1, v24, v0 dst_sel:DWORD dst_unused:UNUSED_PAD src0_sel:DWORD src1_sel:BYTE_1
	v_lshrrev_b16_e32 v1, 1, v1
	v_add_co_u32_e32 v19, vcc, 0x63, v24
	v_and_b32_e32 v1, 0x7f, v1
	v_add_u16_sdwa v0, v1, v0 dst_sel:DWORD dst_unused:UNUSED_PAD src0_sel:DWORD src1_sel:BYTE_1
	v_mul_lo_u16_sdwa v1, v19, s4 dst_sel:DWORD dst_unused:UNUSED_PAD src0_sel:BYTE_0 src1_sel:DWORD
	v_sub_u16_sdwa v2, v19, v1 dst_sel:DWORD dst_unused:UNUSED_PAD src0_sel:DWORD src1_sel:BYTE_1
	v_lshrrev_b16_e32 v15, 3, v0
	v_lshrrev_b16_e32 v2, 1, v2
	v_mul_lo_u16_e32 v0, 11, v15
	v_and_b32_e32 v2, 0x7f, v2
	v_sub_u16_e32 v0, v24, v0
	v_add_u16_sdwa v1, v2, v1 dst_sel:DWORD dst_unused:UNUSED_PAD src0_sel:DWORD src1_sel:BYTE_1
	v_and_b32_e32 v16, 0xff, v0
	v_lshrrev_b16_e32 v17, 3, v1
	v_lshlrev_b32_e32 v0, 3, v16
	v_mul_lo_u16_e32 v1, 11, v17
	s_load_dwordx4 s[8:11], s[8:9], 0x0
	s_waitcnt lgkmcnt(0)
	s_barrier
	global_load_dwordx2 v[11:12], v0, s[2:3]
	v_sub_u16_e32 v0, v19, v1
	v_and_b32_e32 v18, 0xff, v0
	v_lshlrev_b32_e32 v0, 3, v18
	global_load_dwordx2 v[9:10], v0, s[2:3]
	v_mov_b32_e32 v0, 2
	v_lshlrev_b32_sdwa v25, v0, v24 dst_sel:DWORD dst_unused:UNUSED_PAD src0_sel:DWORD src1_sel:WORD_0
	v_add_u32_e32 v43, 0x200, v25
	ds_read2_b32 v[0:1], v25 offset1:99
	v_add_u32_e32 v44, 0x400, v25
	ds_read2_b32 v[2:3], v43 offset0:70 offset1:169
	ds_read2_b32 v[13:14], v44 offset0:140 offset1:239
	v_mul_u32_u24_e32 v15, 33, v15
	v_add_lshl_u32 v33, v15, v16, 2
	s_waitcnt lgkmcnt(2)
	v_lshrrev_b32_e32 v20, 16, v0
	s_waitcnt lgkmcnt(1)
	v_lshrrev_b32_e32 v22, 16, v2
	;; [unrolled: 2-line block ×3, first 2 shown]
	v_lshrrev_b32_e32 v35, 16, v3
	v_lshrrev_b32_e32 v36, 16, v14
	;; [unrolled: 1-line block ×3, first 2 shown]
	s_movk_i32 s4, 0x3aee
	s_mov_b32 s5, 0xbaee
	s_waitcnt vmcnt(0)
	s_barrier
	s_movk_i32 s14, 0xf9
	v_mul_f16_sdwa v15, v22, v11 dst_sel:DWORD dst_unused:UNUSED_PAD src0_sel:DWORD src1_sel:WORD_1
	v_mul_f16_sdwa v16, v2, v11 dst_sel:DWORD dst_unused:UNUSED_PAD src0_sel:DWORD src1_sel:WORD_1
	;; [unrolled: 1-line block ×6, first 2 shown]
	v_fma_f16 v2, v2, v11, -v15
	v_fma_f16 v15, v22, v11, v16
	v_fma_f16 v13, v13, v12, -v37
	v_fma_f16 v16, v34, v12, v38
	v_mul_f16_sdwa v39, v35, v9 dst_sel:DWORD dst_unused:UNUSED_PAD src0_sel:DWORD src1_sel:WORD_1
	v_mul_f16_sdwa v41, v36, v10 dst_sel:DWORD dst_unused:UNUSED_PAD src0_sel:DWORD src1_sel:WORD_1
	v_fma_f16 v22, v35, v9, v40
	v_fma_f16 v34, v36, v10, v42
	v_add_f16_e32 v36, v2, v13
	v_sub_f16_e32 v37, v15, v16
	v_add_f16_e32 v38, v20, v15
	v_add_f16_e32 v15, v15, v16
	v_fma_f16 v3, v3, v9, -v39
	v_fma_f16 v14, v14, v10, -v41
	v_add_f16_e32 v35, v0, v2
	v_sub_f16_e32 v2, v2, v13
	v_sub_f16_e32 v41, v22, v34
	v_add_f16_e32 v42, v21, v22
	v_add_f16_e32 v22, v22, v34
	v_fma_f16 v0, v36, -0.5, v0
	v_fma_f16 v15, v15, -0.5, v20
	v_add_f16_e32 v40, v3, v14
	v_add_f16_e32 v13, v35, v13
	;; [unrolled: 1-line block ×4, first 2 shown]
	v_fma_f16 v21, v22, -0.5, v21
	v_fma_f16 v22, v37, s4, v0
	v_fma_f16 v0, v37, s5, v0
	;; [unrolled: 1-line block ×4, first 2 shown]
	v_add_f16_e32 v39, v1, v3
	v_sub_f16_e32 v3, v3, v14
	v_fma_f16 v1, v40, -0.5, v1
	v_pack_b32_f16 v13, v13, v16
	v_pack_b32_f16 v16, v22, v34
	v_pack_b32_f16 v0, v0, v2
	v_add_f16_e32 v14, v39, v14
	v_fma_f16 v15, v41, s4, v1
	v_fma_f16 v35, v3, s5, v21
	ds_write2_b32 v33, v13, v16 offset1:11
	ds_write_b32 v33, v0 offset:88
	v_mul_u32_u24_e32 v0, 33, v17
	v_fma_f16 v1, v41, s5, v1
	v_fma_f16 v3, v3, s4, v21
	v_add_lshl_u32 v34, v0, v18, 2
	v_pack_b32_f16 v0, v14, v20
	v_pack_b32_f16 v2, v15, v35
	ds_write2_b32 v34, v0, v2 offset1:11
	v_pack_b32_f16 v0, v1, v3
	ds_write_b32 v34, v0 offset:88
	v_mul_lo_u16_sdwa v0, v24, s14 dst_sel:DWORD dst_unused:UNUSED_PAD src0_sel:BYTE_0 src1_sel:DWORD
	v_lshrrev_b16_e32 v20, 13, v0
	v_mul_lo_u16_e32 v0, 33, v20
	v_sub_u16_e32 v0, v24, v0
	v_and_b32_e32 v21, 0xff, v0
	v_mad_u64_u32 v[13:14], s[14:15], v21, 20, s[2:3]
	s_waitcnt lgkmcnt(0)
	s_barrier
	global_load_dwordx4 v[0:3], v[13:14], off offset:88
	global_load_dword v35, v[13:14], off offset:104
	ds_read2_b32 v[13:14], v25 offset1:99
	ds_read2_b32 v[15:16], v43 offset0:70 offset1:169
	ds_read2_b32 v[17:18], v44 offset0:140 offset1:239
	s_waitcnt vmcnt(0) lgkmcnt(0)
	s_barrier
	v_lshrrev_b32_e32 v36, 16, v14
	v_lshrrev_b32_e32 v38, 16, v16
	v_lshrrev_b32_e32 v40, 16, v18
	v_lshrrev_b32_e32 v37, 16, v15
	v_lshrrev_b32_e32 v39, 16, v17
	v_lshrrev_b32_e32 v22, 16, v13
	v_mul_f16_sdwa v42, v14, v0 dst_sel:DWORD dst_unused:UNUSED_PAD src0_sel:DWORD src1_sel:WORD_1
	v_mul_f16_sdwa v46, v15, v1 dst_sel:DWORD dst_unused:UNUSED_PAD src0_sel:DWORD src1_sel:WORD_1
	;; [unrolled: 1-line block ×10, first 2 shown]
	v_fma_f16 v36, v36, v0, v42
	v_fma_f16 v37, v37, v1, v46
	v_fma_f16 v16, v16, v2, -v47
	v_fma_f16 v38, v38, v2, v48
	v_fma_f16 v39, v39, v3, v50
	v_fma_f16 v18, v18, v35, -v51
	v_fma_f16 v40, v40, v35, v52
	v_fma_f16 v14, v14, v0, -v41
	v_fma_f16 v15, v15, v1, -v45
	;; [unrolled: 1-line block ×3, first 2 shown]
	v_sub_f16_e32 v45, v37, v39
	v_add_f16_e32 v46, v22, v37
	v_add_f16_e32 v37, v37, v39
	;; [unrolled: 1-line block ×3, first 2 shown]
	v_sub_f16_e32 v49, v38, v40
	v_add_f16_e32 v50, v36, v38
	v_add_f16_e32 v38, v38, v40
	;; [unrolled: 1-line block ×4, first 2 shown]
	v_sub_f16_e32 v15, v15, v17
	v_add_f16_e32 v47, v14, v16
	v_sub_f16_e32 v16, v16, v18
	v_fma_f16 v22, v37, -0.5, v22
	v_fma_f16 v14, v48, -0.5, v14
	;; [unrolled: 1-line block ×3, first 2 shown]
	v_add_f16_e32 v17, v41, v17
	v_add_f16_e32 v37, v50, v40
	v_fma_f16 v40, v15, s5, v22
	v_fma_f16 v15, v15, s4, v22
	;; [unrolled: 1-line block ×5, first 2 shown]
	v_add_f16_e32 v39, v46, v39
	v_fma_f16 v16, v16, s4, v36
	v_mul_f16_e32 v36, 0x3aee, v41
	v_mul_f16_e32 v46, -0.5, v14
	v_fma_f16 v13, v42, -0.5, v13
	v_add_f16_e32 v18, v47, v18
	v_mul_f16_e32 v47, 0xbaee, v22
	v_fma_f16 v22, v22, 0.5, v36
	v_fma_f16 v36, v16, s4, v46
	v_mul_f16_e32 v16, -0.5, v16
	v_fma_f16 v38, v45, s4, v13
	v_fma_f16 v41, v41, 0.5, v47
	v_fma_f16 v14, v14, s5, v16
	v_fma_f16 v13, v45, s5, v13
	v_add_f16_e32 v42, v17, v18
	v_add_f16_e32 v45, v39, v37
	;; [unrolled: 1-line block ×5, first 2 shown]
	v_sub_f16_e32 v14, v15, v14
	v_mul_u32_u24_e32 v15, 0xc6, v20
	v_add_f16_e32 v47, v13, v36
	v_sub_f16_e32 v17, v17, v18
	v_sub_f16_e32 v18, v38, v22
	;; [unrolled: 1-line block ×4, first 2 shown]
	v_add_lshl_u32 v36, v15, v21, 2
	v_pack_b32_f16 v15, v42, v45
	v_pack_b32_f16 v20, v46, v48
	v_sub_f16_e32 v37, v40, v41
	ds_write2_b32 v36, v15, v20 offset1:33
	v_pack_b32_f16 v15, v47, v16
	v_pack_b32_f16 v16, v17, v22
	ds_write2_b32 v36, v15, v16 offset0:66 offset1:99
	v_pack_b32_f16 v15, v18, v37
	v_pack_b32_f16 v13, v13, v14
	ds_write2_b32 v36, v15, v13 offset0:132 offset1:165
	v_lshlrev_b32_e32 v13, 3, v24
	v_lshlrev_b32_e32 v15, 3, v19
	s_waitcnt lgkmcnt(0)
	s_barrier
	global_load_dwordx2 v[13:14], v13, s[2:3] offset:748
	s_nop 0
	global_load_dwordx2 v[15:16], v15, s[2:3] offset:748
	ds_read2_b32 v[18:19], v25 offset1:99
	ds_read2_b32 v[20:21], v43 offset0:70 offset1:169
	ds_read2_b32 v[37:38], v44 offset0:140 offset1:239
	s_waitcnt lgkmcnt(2)
	v_lshrrev_b32_e32 v22, 16, v18
	s_waitcnt lgkmcnt(1)
	v_lshrrev_b32_e32 v17, 16, v20
	;; [unrolled: 2-line block ×3, first 2 shown]
	v_lshrrev_b32_e32 v41, 16, v21
	v_lshrrev_b32_e32 v42, 16, v38
	;; [unrolled: 1-line block ×3, first 2 shown]
	s_waitcnt vmcnt(1)
	v_mul_f16_sdwa v45, v17, v13 dst_sel:DWORD dst_unused:UNUSED_PAD src0_sel:DWORD src1_sel:WORD_1
	v_mul_f16_sdwa v46, v20, v13 dst_sel:DWORD dst_unused:UNUSED_PAD src0_sel:DWORD src1_sel:WORD_1
	;; [unrolled: 1-line block ×4, first 2 shown]
	s_waitcnt vmcnt(0)
	v_mul_f16_sdwa v49, v41, v15 dst_sel:DWORD dst_unused:UNUSED_PAD src0_sel:DWORD src1_sel:WORD_1
	v_mul_f16_sdwa v50, v21, v15 dst_sel:DWORD dst_unused:UNUSED_PAD src0_sel:DWORD src1_sel:WORD_1
	;; [unrolled: 1-line block ×4, first 2 shown]
	v_fma_f16 v20, v20, v13, -v45
	v_fma_f16 v17, v17, v13, v46
	v_fma_f16 v37, v37, v14, -v47
	v_fma_f16 v39, v39, v14, v48
	;; [unrolled: 2-line block ×4, first 2 shown]
	v_add_f16_e32 v45, v18, v20
	v_add_f16_e32 v46, v20, v37
	;; [unrolled: 1-line block ×4, first 2 shown]
	v_sub_f16_e32 v50, v20, v37
	v_add_f16_e32 v20, v19, v21
	v_add_f16_e32 v51, v21, v38
	v_sub_f16_e32 v52, v41, v42
	v_add_f16_e32 v53, v40, v41
	v_add_f16_e32 v41, v41, v42
	v_sub_f16_e32 v47, v17, v39
	v_sub_f16_e32 v54, v21, v38
	v_add_f16_e32 v17, v45, v37
	v_fma_f16 v21, v46, -0.5, v18
	v_add_f16_e32 v37, v48, v39
	v_fma_f16 v22, v49, -0.5, v22
	;; [unrolled: 2-line block ×4, first 2 shown]
	v_fma_f16 v18, v47, s4, v21
	v_fma_f16 v19, v47, s5, v21
	;; [unrolled: 1-line block ×7, first 2 shown]
	v_pack_b32_f16 v45, v17, v37
	v_pack_b32_f16 v48, v20, v38
	v_fma_f16 v42, v54, s4, v42
	v_pack_b32_f16 v46, v18, v39
	ds_write2_b32 v25, v45, v48 offset1:99
	v_pack_b32_f16 v45, v21, v41
	v_pack_b32_f16 v47, v19, v40
	ds_write2_b32 v43, v46, v45 offset0:70 offset1:169
	v_pack_b32_f16 v43, v22, v42
	ds_write2_b32 v44, v47, v43 offset0:140 offset1:239
	s_waitcnt lgkmcnt(0)
	s_barrier
	s_and_saveexec_b64 s[2:3], s[0:1]
	s_cbranch_execz .LBB0_9
; %bb.8:
	global_load_dword v43, v23, s[6:7] offset:2376
	s_add_u32 s4, s6, 0x948
	s_addc_u32 s5, s7, 0
	global_load_dword v53, v23, s[4:5] offset:216
	global_load_dword v54, v23, s[4:5] offset:432
	;; [unrolled: 1-line block ×10, first 2 shown]
	ds_read_b32 v44, v25
	v_add_u32_e32 v63, 0x400, v23
	v_add_u32_e32 v64, 0x600, v23
	s_waitcnt lgkmcnt(0)
	v_lshrrev_b32_e32 v45, 16, v44
	s_waitcnt vmcnt(10)
	v_mul_f16_sdwa v46, v45, v43 dst_sel:DWORD dst_unused:UNUSED_PAD src0_sel:DWORD src1_sel:WORD_1
	v_mul_f16_sdwa v47, v44, v43 dst_sel:DWORD dst_unused:UNUSED_PAD src0_sel:DWORD src1_sel:WORD_1
	v_fma_f16 v44, v44, v43, -v46
	v_fma_f16 v43, v45, v43, v47
	v_pack_b32_f16 v43, v44, v43
	ds_write_b32 v25, v43
	ds_read2_b32 v[43:44], v23 offset0:54 offset1:108
	ds_read2_b32 v[45:46], v23 offset0:162 offset1:216
	;; [unrolled: 1-line block ×5, first 2 shown]
	s_waitcnt lgkmcnt(4)
	v_lshrrev_b32_e32 v65, 16, v43
	s_waitcnt vmcnt(9)
	v_mul_f16_sdwa v66, v43, v53 dst_sel:DWORD dst_unused:UNUSED_PAD src0_sel:DWORD src1_sel:WORD_1
	v_lshrrev_b32_e32 v67, 16, v44
	s_waitcnt vmcnt(8)
	v_mul_f16_sdwa v68, v44, v54 dst_sel:DWORD dst_unused:UNUSED_PAD src0_sel:DWORD src1_sel:WORD_1
	s_waitcnt lgkmcnt(3)
	v_lshrrev_b32_e32 v69, 16, v45
	s_waitcnt vmcnt(7)
	v_mul_f16_sdwa v70, v45, v55 dst_sel:DWORD dst_unused:UNUSED_PAD src0_sel:DWORD src1_sel:WORD_1
	v_lshrrev_b32_e32 v71, 16, v46
	s_waitcnt vmcnt(6)
	v_mul_f16_sdwa v72, v46, v56 dst_sel:DWORD dst_unused:UNUSED_PAD src0_sel:DWORD src1_sel:WORD_1
	;; [unrolled: 7-line block ×4, first 2 shown]
	s_waitcnt lgkmcnt(0)
	v_lshrrev_b32_e32 v81, 16, v51
	s_waitcnt vmcnt(1)
	v_mul_f16_sdwa v82, v51, v61 dst_sel:DWORD dst_unused:UNUSED_PAD src0_sel:DWORD src1_sel:WORD_1
	v_lshrrev_b32_e32 v83, 16, v52
	v_mul_f16_sdwa v85, v65, v53 dst_sel:DWORD dst_unused:UNUSED_PAD src0_sel:DWORD src1_sel:WORD_1
	v_fma_f16 v65, v65, v53, v66
	v_mul_f16_sdwa v66, v67, v54 dst_sel:DWORD dst_unused:UNUSED_PAD src0_sel:DWORD src1_sel:WORD_1
	s_waitcnt vmcnt(0)
	v_mul_f16_sdwa v84, v52, v62 dst_sel:DWORD dst_unused:UNUSED_PAD src0_sel:DWORD src1_sel:WORD_1
	v_fma_f16 v67, v67, v54, v68
	v_mul_f16_sdwa v68, v69, v55 dst_sel:DWORD dst_unused:UNUSED_PAD src0_sel:DWORD src1_sel:WORD_1
	v_fma_f16 v69, v69, v55, v70
	;; [unrolled: 2-line block ×8, first 2 shown]
	v_mul_f16_sdwa v82, v83, v62 dst_sel:DWORD dst_unused:UNUSED_PAD src0_sel:DWORD src1_sel:WORD_1
	v_fma_f16 v43, v43, v53, -v85
	v_fma_f16 v44, v44, v54, -v66
	v_fma_f16 v83, v83, v62, v84
	v_fma_f16 v45, v45, v55, -v68
	v_fma_f16 v46, v46, v56, -v70
	;; [unrolled: 1-line block ×8, first 2 shown]
	v_pack_b32_f16 v43, v43, v65
	v_pack_b32_f16 v44, v44, v67
	;; [unrolled: 1-line block ×10, first 2 shown]
	ds_write2_b32 v23, v43, v44 offset0:54 offset1:108
	ds_write2_b32 v23, v45, v46 offset0:162 offset1:216
	;; [unrolled: 1-line block ×5, first 2 shown]
.LBB0_9:
	s_or_b64 exec, exec, s[2:3]
	s_waitcnt lgkmcnt(0)
	s_barrier
	s_and_saveexec_b64 s[2:3], s[0:1]
	s_cbranch_execz .LBB0_11
; %bb.10:
	v_add_u32_e32 v5, 0x200, v25
	v_add_u32_e32 v7, 0x400, v25
	ds_read2_b32 v[17:18], v25 offset1:54
	ds_read2_b32 v[19:20], v25 offset0:108 offset1:162
	ds_read2_b32 v[21:22], v5 offset0:88 offset1:142
	;; [unrolled: 1-line block ×4, first 2 shown]
	ds_read_b32 v27, v25 offset:2160
	s_waitcnt lgkmcnt(5)
	v_lshrrev_b32_e32 v37, 16, v17
	v_lshrrev_b32_e32 v39, 16, v18
	s_waitcnt lgkmcnt(4)
	v_lshrrev_b32_e32 v40, 16, v19
	v_lshrrev_b32_e32 v38, 16, v20
	;; [unrolled: 3-line block ×5, first 2 shown]
	s_waitcnt lgkmcnt(0)
	v_lshrrev_b32_e32 v32, 16, v27
.LBB0_11:
	s_or_b64 exec, exec, s[2:3]
	s_barrier
	s_and_saveexec_b64 s[2:3], s[0:1]
	s_cbranch_execz .LBB0_13
; %bb.12:
	v_add_f16_e32 v43, v32, v39
	v_mul_f16_e32 v44, 0xbbad, v43
	v_sub_f16_e32 v45, v18, v27
	s_movk_i32 s18, 0x3482
	v_add_f16_e32 v47, v28, v40
	v_fma_f16 v46, v45, s18, v44
	v_mul_f16_e32 v48, 0x3abb, v47
	v_sub_f16_e32 v49, v19, v8
	s_mov_b32 s16, 0xb853
	v_add_f16_e32 v46, v37, v46
	v_fma_f16 v50, v49, s16, v48
	v_add_f16_e32 v46, v50, v46
	v_add_f16_e32 v50, v29, v38
	v_mul_f16_e32 v51, 0xb93d, v50
	v_sub_f16_e32 v52, v20, v7
	s_movk_i32 s25, 0x3a0c
	v_fma_f16 v53, v52, s25, v51
	v_add_f16_e32 v46, v53, v46
	v_add_f16_e32 v53, v30, v41
	v_mul_f16_e32 v54, 0x36a6, v53
	v_sub_f16_e32 v55, v21, v6
	s_mov_b32 s19, 0xbb47
	v_fma_f16 v56, v55, s19, v54
	v_add_f16_e32 v46, v56, v46
	v_add_f16_e32 v56, v31, v42
	v_mul_f16_e32 v57, 0xb08e, v56
	v_sub_f16_e32 v58, v22, v5
	s_movk_i32 s22, 0x3beb
	v_fma_f16 v59, v58, s22, v57
	v_sub_f16_e32 v60, v39, v32
	s_mov_b32 s4, 0xbbad
	v_add_f16_e32 v46, v59, v46
	v_add_f16_e32 v59, v27, v18
	v_mul_f16_e32 v61, 0xb482, v60
	v_sub_f16_e32 v64, v40, v28
	s_movk_i32 s5, 0x3abb
	v_fma_f16 v62, v59, s4, v61
	v_add_f16_e32 v63, v8, v19
	v_mul_f16_e32 v65, 0x3853, v64
	v_add_f16_e32 v62, v17, v62
	v_fma_f16 v66, v63, s5, v65
	v_sub_f16_e32 v67, v38, v29
	s_mov_b32 s14, 0xb93d
	v_add_f16_e32 v62, v66, v62
	v_add_f16_e32 v66, v7, v20
	v_mul_f16_e32 v68, 0xba0c, v67
	v_fma_f16 v69, v66, s14, v68
	v_sub_f16_e32 v70, v41, v30
	s_movk_i32 s15, 0x36a6
	v_add_f16_e32 v62, v69, v62
	v_add_f16_e32 v69, v6, v21
	v_mul_f16_e32 v71, 0x3b47, v70
	v_fma_f16 v72, v69, s15, v71
	v_sub_f16_e32 v73, v42, v31
	s_mov_b32 s17, 0xb08e
	v_add_f16_e32 v62, v72, v62
	v_add_f16_e32 v72, v5, v22
	v_mul_f16_e32 v74, 0xbbeb, v73
	v_fma_f16 v75, v72, s17, v74
	v_add_f16_e32 v62, v75, v62
	v_mul_f16_e32 v75, 0xb93d, v43
	s_mov_b32 s24, 0xbbeb
	v_fma_f16 v76, v45, s25, v75
	v_mul_f16_e32 v77, 0xb08e, v47
	v_add_f16_e32 v76, v37, v76
	v_fma_f16 v78, v49, s24, v77
	s_movk_i32 s23, 0x3853
	v_add_f16_e32 v76, v78, v76
	v_mul_f16_e32 v78, 0x3abb, v50
	v_fma_f16 v79, v52, s23, v78
	v_add_f16_e32 v76, v79, v76
	v_mul_f16_e32 v79, 0xbbad, v53
	v_fma_f16 v80, v55, s18, v79
	;; [unrolled: 3-line block ×3, first 2 shown]
	v_add_f16_e32 v18, v18, v17
	v_add_f16_e32 v76, v81, v76
	v_mul_f16_e32 v81, 0xba0c, v60
	v_add_f16_e32 v18, v19, v18
	v_fma_f16 v82, v59, s14, v81
	v_mul_f16_e32 v83, 0x3beb, v64
	v_add_f16_e32 v18, v20, v18
	v_add_f16_e32 v82, v17, v82
	v_fma_f16 v84, v63, s17, v83
	v_add_f16_e32 v18, v21, v18
	v_add_f16_e32 v82, v84, v82
	v_mul_f16_e32 v84, 0xb853, v67
	v_add_f16_e32 v18, v22, v18
	v_fma_f16 v85, v66, s5, v84
	v_add_f16_e32 v5, v5, v18
	s_mov_b32 s20, 0xb482
	v_add_f16_e32 v82, v85, v82
	v_mul_f16_e32 v85, 0xb482, v70
	v_add_f16_e32 v5, v6, v5
	v_fma_f16 v86, v69, s4, v85
	v_add_f16_e32 v5, v7, v5
	v_fma_f16 v7, v45, s20, v44
	s_mov_b32 s21, 0xba0c
	v_add_f16_e32 v82, v86, v82
	v_mul_f16_e32 v86, 0x3b47, v73
	v_add_f16_e32 v5, v8, v5
	v_add_f16_e32 v7, v37, v7
	v_fma_f16 v8, v49, s23, v48
	s_movk_i32 s26, 0x3b47
	v_fma_f16 v87, v72, s15, v86
	v_add_f16_e32 v7, v8, v7
	v_fma_f16 v8, v52, s21, v51
	v_add_f16_e32 v82, v87, v82
	v_mul_f16_e32 v87, 0xb08e, v43
	v_add_f16_e32 v7, v8, v7
	v_fma_f16 v8, v55, s26, v54
	v_fma_f16 v88, v45, s22, v87
	v_mul_f16_e32 v89, 0xbbad, v47
	v_add_f16_e32 v7, v8, v7
	v_fma_f16 v8, v58, s24, v57
	v_add_f16_e32 v88, v37, v88
	v_fma_f16 v90, v49, s20, v89
	v_add_f16_e32 v7, v8, v7
	v_fma_f16 v8, v59, s4, -v61
	v_add_f16_e32 v88, v90, v88
	v_mul_f16_e32 v90, 0x36a6, v50
	v_add_f16_e32 v8, v17, v8
	v_fma_f16 v18, v63, s5, -v65
	v_fma_f16 v91, v52, s19, v90
	v_add_f16_e32 v8, v18, v8
	v_fma_f16 v18, v66, s14, -v68
	v_add_f16_e32 v88, v91, v88
	v_mul_f16_e32 v91, 0x3abb, v53
	v_add_f16_e32 v8, v18, v8
	v_fma_f16 v18, v69, s15, -v71
	v_fma_f16 v92, v55, s23, v91
	v_add_f16_e32 v8, v18, v8
	v_fma_f16 v18, v72, s17, -v74
	v_add_f16_e32 v88, v92, v88
	v_mul_f16_e32 v92, 0xb93d, v56
	v_add_f16_e32 v8, v18, v8
	v_fma_f16 v18, v45, s21, v75
	v_fma_f16 v93, v58, s25, v92
	v_add_f16_e32 v18, v37, v18
	v_fma_f16 v19, v49, s22, v77
	v_add_f16_e32 v88, v93, v88
	v_mul_f16_e32 v93, 0xbbeb, v60
	v_add_f16_e32 v18, v19, v18
	v_fma_f16 v19, v52, s16, v78
	v_fma_f16 v94, v59, s17, v93
	v_mul_f16_e32 v95, 0x3482, v64
	v_add_f16_e32 v18, v19, v18
	v_fma_f16 v19, v55, s20, v79
	v_add_f16_e32 v94, v17, v94
	v_fma_f16 v96, v63, s4, v95
	;; [unrolled: 2-line block ×3, first 2 shown]
	v_add_f16_e32 v94, v96, v94
	v_mul_f16_e32 v96, 0x3b47, v67
	v_add_f16_e32 v18, v19, v18
	v_fma_f16 v19, v59, s14, -v81
	v_fma_f16 v97, v66, s15, v96
	v_add_f16_e32 v19, v17, v19
	v_fma_f16 v20, v63, s17, -v83
	v_add_f16_e32 v94, v97, v94
	v_mul_f16_e32 v97, 0xb853, v70
	v_add_f16_e32 v19, v20, v19
	v_fma_f16 v20, v66, s5, -v84
	v_fma_f16 v98, v69, s5, v97
	v_add_f16_e32 v19, v20, v19
	v_fma_f16 v20, v69, s4, -v85
	v_add_f16_e32 v94, v98, v94
	v_mul_f16_e32 v98, 0xba0c, v73
	v_add_f16_e32 v19, v20, v19
	v_fma_f16 v20, v72, s15, -v86
	v_fma_f16 v99, v72, s14, v98
	v_add_f16_e32 v19, v20, v19
	v_fma_f16 v20, v45, s24, v87
	v_add_f16_e32 v94, v99, v94
	v_mul_f16_e32 v99, 0x36a6, v43
	v_add_f16_e32 v20, v37, v20
	v_fma_f16 v21, v49, s18, v89
	v_fma_f16 v100, v45, s26, v99
	v_mul_f16_e32 v101, 0xb93d, v47
	v_add_f16_e32 v20, v21, v20
	v_fma_f16 v21, v52, s26, v90
	v_add_f16_e32 v100, v37, v100
	v_fma_f16 v102, v49, s25, v101
	;; [unrolled: 2-line block ×3, first 2 shown]
	v_add_f16_e32 v100, v102, v100
	v_mul_f16_e32 v102, 0xbbad, v50
	v_add_f16_e32 v20, v21, v20
	v_fma_f16 v21, v58, s21, v92
	v_fma_f16 v103, v52, s20, v102
	v_add_f16_e32 v20, v21, v20
	v_fma_f16 v21, v59, s17, -v93
	v_add_f16_e32 v100, v103, v100
	v_mul_f16_e32 v103, 0xb08e, v53
	v_add_f16_e32 v21, v17, v21
	v_fma_f16 v22, v63, s4, -v95
	v_fma_f16 v104, v55, s24, v103
	v_add_f16_e32 v21, v22, v21
	v_fma_f16 v22, v66, s15, -v96
	v_add_f16_e32 v100, v104, v100
	v_mul_f16_e32 v104, 0x3abb, v56
	v_add_f16_e32 v6, v39, v37
	v_add_f16_e32 v21, v22, v21
	v_fma_f16 v22, v69, s5, -v97
	v_fma_f16 v105, v58, s16, v104
	v_add_f16_e32 v6, v40, v6
	v_add_f16_e32 v21, v22, v21
	v_fma_f16 v22, v72, s14, -v98
	v_add_f16_e32 v100, v105, v100
	v_mul_f16_e32 v105, 0xbb47, v60
	v_add_f16_e32 v6, v38, v6
	v_add_f16_e32 v21, v22, v21
	v_fma_f16 v22, v45, s19, v99
	v_fma_f16 v106, v59, s15, v105
	v_mul_f16_e32 v107, 0xba0c, v64
	v_add_f16_e32 v5, v27, v5
	v_add_f16_e32 v6, v41, v6
	;; [unrolled: 1-line block ×3, first 2 shown]
	v_fma_f16 v27, v49, s21, v101
	v_add_f16_e32 v106, v17, v106
	v_fma_f16 v108, v63, s14, v107
	v_add_f16_e32 v6, v42, v6
	v_add_f16_e32 v22, v27, v22
	v_fma_f16 v27, v52, s18, v102
	v_add_f16_e32 v106, v108, v106
	v_mul_f16_e32 v108, 0x3482, v67
	v_add_f16_e32 v6, v31, v6
	v_add_f16_e32 v22, v27, v22
	v_fma_f16 v27, v55, s22, v103
	v_fma_f16 v109, v66, s4, v108
	v_add_f16_e32 v6, v30, v6
	v_add_f16_e32 v22, v27, v22
	v_fma_f16 v27, v58, s23, v104
	v_add_f16_e32 v106, v109, v106
	v_mul_f16_e32 v109, 0x3beb, v70
	v_add_f16_e32 v6, v29, v6
	v_add_f16_e32 v22, v27, v22
	v_fma_f16 v27, v59, s15, -v105
	v_fma_f16 v110, v69, s17, v109
	v_add_f16_e32 v6, v28, v6
	v_add_f16_e32 v27, v17, v27
	v_fma_f16 v28, v63, s14, -v107
	v_add_f16_e32 v106, v110, v106
	v_mul_f16_e32 v110, 0x3853, v73
	v_add_f16_e32 v27, v28, v27
	v_fma_f16 v28, v66, s4, -v108
	v_fma_f16 v111, v72, s5, v110
	v_mul_f16_e32 v43, 0x3abb, v43
	v_add_f16_e32 v27, v28, v27
	v_fma_f16 v28, v69, s17, -v109
	v_add_f16_e32 v106, v111, v106
	v_fma_f16 v111, v45, s23, v43
	v_mul_f16_e32 v47, 0x36a6, v47
	v_add_f16_e32 v27, v28, v27
	v_fma_f16 v28, v72, s5, -v110
	v_add_f16_e32 v111, v37, v111
	v_fma_f16 v112, v49, s26, v47
	v_mul_f16_e32 v50, 0xb08e, v50
	v_add_f16_e32 v27, v28, v27
	v_fma_f16 v28, v45, s16, v43
	v_add_f16_e32 v111, v112, v111
	v_fma_f16 v112, v52, s22, v50
	v_mul_f16_e32 v53, 0xb93d, v53
	v_add_f16_e32 v28, v37, v28
	v_fma_f16 v29, v49, s19, v47
	;; [unrolled: 5-line block ×5, first 2 shown]
	v_add_f16_e32 v112, v17, v112
	v_fma_f16 v113, v63, s15, v64
	v_mul_f16_e32 v67, 0xbbeb, v67
	v_add_f16_e32 v28, v29, v28
	v_fma_f16 v29, v59, s5, -v60
	v_add_f16_e32 v112, v113, v112
	v_fma_f16 v113, v66, s17, v67
	v_mul_f16_e32 v70, 0xba0c, v70
	v_add_f16_e32 v17, v17, v29
	v_fma_f16 v29, v63, s15, -v64
	;; [unrolled: 5-line block ×3, first 2 shown]
	v_add_f16_e32 v112, v113, v112
	v_fma_f16 v113, v72, s4, v73
	v_add_f16_e32 v17, v29, v17
	v_fma_f16 v29, v69, s14, -v70
	v_add_f16_e32 v112, v113, v112
	v_add_f16_e32 v6, v32, v6
	;; [unrolled: 1-line block ×3, first 2 shown]
	v_fma_f16 v29, v72, s4, -v73
	v_add_f16_e32 v17, v29, v17
	v_lshlrev_b32_e32 v26, 2, v26
	v_pack_b32_f16 v29, v112, v111
	v_pack_b32_f16 v5, v5, v6
	ds_write2_b32 v26, v5, v29 offset1:1
	v_pack_b32_f16 v5, v94, v88
	v_pack_b32_f16 v6, v106, v100
	ds_write2_b32 v26, v6, v5 offset0:2 offset1:3
	v_pack_b32_f16 v5, v62, v46
	v_pack_b32_f16 v6, v82, v76
	ds_write2_b32 v26, v6, v5 offset0:4 offset1:5
	;; [unrolled: 3-line block ×4, first 2 shown]
	v_pack_b32_f16 v5, v17, v28
	ds_write_b32 v26, v5 offset:40
.LBB0_13:
	s_or_b64 exec, exec, s[2:3]
	v_add_u32_e32 v19, 0x200, v25
	s_waitcnt lgkmcnt(0)
	s_barrier
	ds_read2_b32 v[7:8], v19 offset0:70 offset1:169
	v_add_u32_e32 v20, 0x400, v25
	ds_read2_b32 v[17:18], v20 offset0:140 offset1:239
	ds_read2_b32 v[5:6], v25 offset1:99
	s_mov_b32 s2, 0xbaee
	s_waitcnt lgkmcnt(2)
	v_lshrrev_b32_e32 v22, 16, v7
	v_mul_f16_sdwa v30, v11, v22 dst_sel:DWORD dst_unused:UNUSED_PAD src0_sel:WORD_1 src1_sel:DWORD
	s_waitcnt lgkmcnt(1)
	v_lshrrev_b32_e32 v26, 16, v17
	v_fma_f16 v30, v11, v7, v30
	v_mul_f16_sdwa v7, v11, v7 dst_sel:DWORD dst_unused:UNUSED_PAD src0_sel:WORD_1 src1_sel:DWORD
	v_fma_f16 v7, v11, v22, -v7
	v_mul_f16_sdwa v11, v12, v26 dst_sel:DWORD dst_unused:UNUSED_PAD src0_sel:WORD_1 src1_sel:DWORD
	v_lshrrev_b32_e32 v28, 16, v8
	v_fma_f16 v11, v12, v17, v11
	v_mul_f16_sdwa v17, v12, v17 dst_sel:DWORD dst_unused:UNUSED_PAD src0_sel:WORD_1 src1_sel:DWORD
	v_fma_f16 v12, v12, v26, -v17
	v_mul_f16_sdwa v17, v9, v28 dst_sel:DWORD dst_unused:UNUSED_PAD src0_sel:WORD_1 src1_sel:DWORD
	;; [unrolled: 5-line block ×3, first 2 shown]
	v_fma_f16 v9, v10, v18, v9
	v_mul_f16_sdwa v18, v10, v18 dst_sel:DWORD dst_unused:UNUSED_PAD src0_sel:WORD_1 src1_sel:DWORD
	v_add_f16_e32 v22, v30, v11
	s_waitcnt lgkmcnt(0)
	v_lshrrev_b32_e32 v21, 16, v5
	v_fma_f16 v10, v10, v29, -v18
	v_add_f16_e32 v18, v5, v30
	v_fma_f16 v5, v22, -0.5, v5
	v_sub_f16_e32 v22, v7, v12
	s_movk_i32 s3, 0x3aee
	v_fma_f16 v26, v22, s2, v5
	v_fma_f16 v5, v22, s3, v5
	v_add_f16_e32 v22, v21, v7
	v_add_f16_e32 v7, v7, v12
	;; [unrolled: 1-line block ×3, first 2 shown]
	v_fma_f16 v7, v7, -0.5, v21
	v_sub_f16_e32 v11, v30, v11
	v_add_f16_e32 v21, v17, v9
	v_lshrrev_b32_e32 v27, 16, v6
	v_add_f16_e32 v22, v22, v12
	v_fma_f16 v12, v11, s3, v7
	v_fma_f16 v7, v11, s2, v7
	v_add_f16_e32 v11, v6, v17
	v_fma_f16 v6, v21, -0.5, v6
	v_sub_f16_e32 v21, v8, v10
	v_fma_f16 v28, v21, s2, v6
	v_fma_f16 v6, v21, s3, v6
	v_add_f16_e32 v21, v27, v8
	v_add_f16_e32 v8, v8, v10
	;; [unrolled: 1-line block ×3, first 2 shown]
	v_fma_f16 v8, v8, -0.5, v27
	v_sub_f16_e32 v9, v17, v9
	v_add_f16_e32 v21, v21, v10
	v_fma_f16 v10, v9, s3, v8
	v_pack_b32_f16 v5, v5, v7
	v_fma_f16 v8, v9, s2, v8
	s_barrier
	v_pack_b32_f16 v9, v18, v22
	v_pack_b32_f16 v12, v26, v12
	ds_write_b32 v33, v5 offset:88
	v_pack_b32_f16 v5, v11, v21
	v_pack_b32_f16 v7, v28, v10
	ds_write2_b32 v33, v9, v12 offset1:11
	ds_write2_b32 v34, v5, v7 offset1:11
	v_pack_b32_f16 v5, v6, v8
	ds_write_b32 v34, v5 offset:88
	s_waitcnt lgkmcnt(0)
	s_barrier
	ds_read2_b32 v[5:6], v25 offset1:99
	ds_read2_b32 v[7:8], v19 offset0:70 offset1:169
	ds_read2_b32 v[9:10], v20 offset0:140 offset1:239
	s_waitcnt lgkmcnt(0)
	s_barrier
	v_lshrrev_b32_e32 v12, 16, v6
	v_mul_f16_sdwa v26, v0, v12 dst_sel:DWORD dst_unused:UNUSED_PAD src0_sel:WORD_1 src1_sel:DWORD
	v_lshrrev_b32_e32 v17, 16, v7
	v_fma_f16 v26, v0, v6, v26
	v_mul_f16_sdwa v6, v0, v6 dst_sel:DWORD dst_unused:UNUSED_PAD src0_sel:WORD_1 src1_sel:DWORD
	v_fma_f16 v0, v0, v12, -v6
	v_mul_f16_sdwa v6, v1, v17 dst_sel:DWORD dst_unused:UNUSED_PAD src0_sel:WORD_1 src1_sel:DWORD
	v_lshrrev_b32_e32 v18, 16, v8
	v_fma_f16 v6, v1, v7, v6
	v_mul_f16_sdwa v7, v1, v7 dst_sel:DWORD dst_unused:UNUSED_PAD src0_sel:WORD_1 src1_sel:DWORD
	v_fma_f16 v1, v1, v17, -v7
	;; [unrolled: 5-line block ×3, first 2 shown]
	v_mul_f16_sdwa v8, v3, v21 dst_sel:DWORD dst_unused:UNUSED_PAD src0_sel:WORD_1 src1_sel:DWORD
	v_fma_f16 v8, v3, v9, v8
	v_mul_f16_sdwa v9, v3, v9 dst_sel:DWORD dst_unused:UNUSED_PAD src0_sel:WORD_1 src1_sel:DWORD
	v_lshrrev_b32_e32 v22, 16, v10
	v_fma_f16 v3, v3, v21, -v9
	v_add_f16_e32 v17, v6, v8
	v_lshrrev_b32_e32 v11, 16, v5
	v_mul_f16_sdwa v9, v35, v22 dst_sel:DWORD dst_unused:UNUSED_PAD src0_sel:WORD_1 src1_sel:DWORD
	v_add_f16_e32 v12, v5, v6
	v_fma_f16 v5, v17, -0.5, v5
	v_sub_f16_e32 v17, v1, v3
	v_fma_f16 v9, v35, v10, v9
	v_mul_f16_sdwa v10, v35, v10 dst_sel:DWORD dst_unused:UNUSED_PAD src0_sel:WORD_1 src1_sel:DWORD
	v_fma_f16 v18, v17, s2, v5
	v_fma_f16 v5, v17, s3, v5
	v_add_f16_e32 v17, v11, v1
	v_fma_f16 v10, v35, v22, -v10
	v_add_f16_e32 v12, v12, v8
	v_add_f16_e32 v17, v17, v3
	v_add_f16_e32 v1, v1, v3
	v_sub_f16_e32 v3, v6, v8
	v_add_f16_e32 v8, v7, v9
	v_fma_f16 v1, v1, -0.5, v11
	v_fma_f16 v8, v8, -0.5, v26
	v_sub_f16_e32 v11, v2, v10
	v_fma_f16 v21, v11, s2, v8
	v_fma_f16 v8, v11, s3, v8
	v_add_f16_e32 v11, v0, v2
	v_add_f16_e32 v2, v2, v10
	v_fma_f16 v0, v2, -0.5, v0
	v_sub_f16_e32 v2, v7, v9
	v_fma_f16 v6, v3, s3, v1
	v_fma_f16 v1, v3, s2, v1
	v_add_f16_e32 v3, v26, v7
	v_fma_f16 v7, v2, s3, v0
	v_add_f16_e32 v3, v3, v9
	v_fma_f16 v0, v2, s2, v0
	v_mul_f16_e32 v9, 0xbaee, v7
	v_mul_f16_e32 v7, 0.5, v7
	v_add_f16_e32 v11, v11, v10
	v_fma_f16 v9, v21, 0.5, v9
	v_mul_f16_e32 v22, 0xbaee, v0
	v_fma_f16 v7, v21, s3, v7
	v_mul_f16_e32 v0, -0.5, v0
	v_add_f16_e32 v2, v12, v3
	v_add_f16_e32 v10, v18, v9
	v_fma_f16 v22, v8, -0.5, v22
	v_add_f16_e32 v27, v17, v11
	v_add_f16_e32 v21, v6, v7
	v_fma_f16 v0, v8, s3, v0
	v_add_f16_e32 v26, v5, v22
	v_add_f16_e32 v8, v1, v0
	v_sub_f16_e32 v3, v12, v3
	v_sub_f16_e32 v11, v17, v11
	;; [unrolled: 1-line block ×3, first 2 shown]
	v_pack_b32_f16 v1, v2, v27
	v_pack_b32_f16 v2, v10, v21
	v_sub_f16_e32 v9, v18, v9
	v_sub_f16_e32 v5, v5, v22
	;; [unrolled: 1-line block ×3, first 2 shown]
	ds_write2_b32 v36, v1, v2 offset1:33
	v_pack_b32_f16 v1, v26, v8
	v_pack_b32_f16 v2, v3, v11
	ds_write2_b32 v36, v1, v2 offset0:66 offset1:99
	v_pack_b32_f16 v1, v9, v6
	v_pack_b32_f16 v0, v5, v0
	ds_write2_b32 v36, v1, v0 offset0:132 offset1:165
	s_waitcnt lgkmcnt(0)
	s_barrier
	ds_read2_b32 v[0:1], v25 offset1:99
	ds_read2_b32 v[2:3], v19 offset0:70 offset1:169
	ds_read2_b32 v[5:6], v20 offset0:140 offset1:239
	s_waitcnt lgkmcnt(2)
	v_lshrrev_b32_e32 v7, 16, v0
	s_waitcnt lgkmcnt(1)
	v_lshrrev_b32_e32 v8, 16, v2
	v_mul_f16_sdwa v17, v13, v8 dst_sel:DWORD dst_unused:UNUSED_PAD src0_sel:WORD_1 src1_sel:DWORD
	s_waitcnt lgkmcnt(0)
	v_lshrrev_b32_e32 v9, 16, v5
	v_fma_f16 v17, v13, v2, v17
	v_mul_f16_sdwa v2, v13, v2 dst_sel:DWORD dst_unused:UNUSED_PAD src0_sel:WORD_1 src1_sel:DWORD
	v_fma_f16 v2, v13, v8, -v2
	v_mul_f16_sdwa v8, v14, v9 dst_sel:DWORD dst_unused:UNUSED_PAD src0_sel:WORD_1 src1_sel:DWORD
	v_lshrrev_b32_e32 v11, 16, v3
	v_fma_f16 v8, v14, v5, v8
	v_mul_f16_sdwa v5, v14, v5 dst_sel:DWORD dst_unused:UNUSED_PAD src0_sel:WORD_1 src1_sel:DWORD
	v_fma_f16 v5, v14, v9, -v5
	v_mul_f16_sdwa v9, v15, v11 dst_sel:DWORD dst_unused:UNUSED_PAD src0_sel:WORD_1 src1_sel:DWORD
	;; [unrolled: 5-line block ×3, first 2 shown]
	v_fma_f16 v11, v16, v6, v11
	v_mul_f16_sdwa v6, v16, v6 dst_sel:DWORD dst_unused:UNUSED_PAD src0_sel:WORD_1 src1_sel:DWORD
	v_add_f16_e32 v13, v17, v8
	v_fma_f16 v6, v16, v12, -v6
	v_add_f16_e32 v12, v0, v17
	v_fma_f16 v0, v13, -0.5, v0
	v_sub_f16_e32 v13, v2, v5
	v_fma_f16 v14, v13, s2, v0
	v_fma_f16 v0, v13, s3, v0
	v_add_f16_e32 v13, v7, v2
	v_add_f16_e32 v2, v2, v5
	;; [unrolled: 1-line block ×4, first 2 shown]
	v_fma_f16 v2, v2, -0.5, v7
	v_sub_f16_e32 v5, v17, v8
	v_add_f16_e32 v8, v9, v11
	v_lshrrev_b32_e32 v10, 16, v1
	v_fma_f16 v7, v5, s3, v2
	v_fma_f16 v2, v5, s2, v2
	v_add_f16_e32 v5, v1, v9
	v_fma_f16 v1, v8, -0.5, v1
	v_sub_f16_e32 v8, v3, v6
	v_fma_f16 v15, v8, s2, v1
	v_fma_f16 v1, v8, s3, v1
	v_add_f16_e32 v8, v10, v3
	v_add_f16_e32 v3, v3, v6
	;; [unrolled: 1-line block ×4, first 2 shown]
	v_fma_f16 v3, v3, -0.5, v10
	v_sub_f16_e32 v6, v9, v11
	v_fma_f16 v9, v6, s3, v3
	v_fma_f16 v3, v6, s2, v3
	v_pack_b32_f16 v6, v12, v13
	v_pack_b32_f16 v0, v0, v2
	;; [unrolled: 1-line block ×4, first 2 shown]
	ds_write2_b32 v25, v6, v2 offset1:99
	v_pack_b32_f16 v2, v15, v9
	v_pack_b32_f16 v1, v1, v3
	ds_write2_b32 v19, v7, v2 offset0:70 offset1:169
	ds_write2_b32 v20, v0, v1 offset0:140 offset1:239
	s_waitcnt lgkmcnt(0)
	s_barrier
	s_and_b64 exec, exec, s[0:1]
	s_cbranch_execz .LBB0_15
; %bb.14:
	global_load_dword v10, v23, s[6:7]
	global_load_dword v9, v23, s[6:7] offset:216
	v_mad_u64_u32 v[2:3], s[0:1], s10, v4, 0
	ds_read_b32 v16, v25
	v_mad_u64_u32 v[5:6], s[0:1], s8, v24, 0
	v_mad_u64_u32 v[3:4], s[0:1], s11, v4, v[3:4]
	s_waitcnt lgkmcnt(0)
	v_lshrrev_b32_e32 v4, 16, v16
	v_mov_b32_e32 v7, 0x7c00
	ds_read2_b32 v[0:1], v23 offset0:54 offset1:108
	v_mad_u64_u32 v[18:19], s[0:1], s9, v24, v[6:7]
	s_mov_b32 s14, 0x2b18ff23
	s_mov_b32 s15, 0x3f5b951e
	s_movk_i32 s18, 0x1ff
	global_load_dword v11, v23, s[6:7] offset:432
	global_load_dword v12, v23, s[6:7] offset:648
	;; [unrolled: 1-line block ×6, first 2 shown]
	s_movk_i32 s17, 0xffe
	v_mov_b32_e32 v6, v18
	s_movk_i32 s16, 0x40f
	s_mov_b32 s10, 0x8000
	v_lshlrev_b64 v[2:3], 2, v[2:3]
	s_waitcnt vmcnt(7)
	v_mul_f16_sdwa v17, v4, v10 dst_sel:DWORD dst_unused:UNUSED_PAD src0_sel:DWORD src1_sel:WORD_1
	v_fma_f16 v17, v16, v10, v17
	v_mul_f16_sdwa v16, v16, v10 dst_sel:DWORD dst_unused:UNUSED_PAD src0_sel:DWORD src1_sel:WORD_1
	v_cvt_f32_f16_e32 v17, v17
	v_fma_f16 v4, v10, v4, -v16
	v_cvt_f32_f16_e32 v4, v4
	s_waitcnt lgkmcnt(0)
	v_lshrrev_b32_e32 v10, 16, v0
	v_cvt_f64_f32_e32 v[16:17], v17
	v_cvt_f64_f32_e32 v[19:20], v4
	s_waitcnt vmcnt(6)
	v_mul_f16_sdwa v4, v10, v9 dst_sel:DWORD dst_unused:UNUSED_PAD src0_sel:DWORD src1_sel:WORD_1
	v_mul_f64 v[16:17], v[16:17], s[14:15]
	v_fma_f16 v4, v0, v9, v4
	v_mul_f64 v[19:20], v[19:20], s[14:15]
	v_cvt_f32_f16_e32 v4, v4
	v_mul_f16_sdwa v0, v0, v9 dst_sel:DWORD dst_unused:UNUSED_PAD src0_sel:DWORD src1_sel:WORD_1
	v_fma_f16 v0, v9, v10, -v0
	v_cvt_f32_f16_e32 v0, v0
	v_cvt_f64_f32_e32 v[21:22], v4
	v_and_or_b32 v4, v17, s18, v16
	v_cmp_ne_u32_e32 vcc, 0, v4
	v_and_or_b32 v19, v20, s18, v19
	v_lshrrev_b32_e32 v16, 8, v17
	v_bfe_u32 v18, v17, 20, 11
	v_cndmask_b32_e64 v4, 0, 1, vcc
	v_cmp_ne_u32_e32 vcc, 0, v19
	v_lshrrev_b32_e32 v24, 8, v20
	v_bfe_u32 v25, v20, 20, 11
	v_sub_u32_e32 v26, 0x3f1, v18
	v_cndmask_b32_e64 v19, 0, 1, vcc
	v_and_or_b32 v4, v16, s17, v4
	v_sub_u32_e32 v27, 0x3f1, v25
	v_med3_i32 v16, v26, 0, 13
	v_and_or_b32 v19, v24, s17, v19
	v_or_b32_e32 v26, 0x1000, v4
	v_add_u32_e32 v18, 0xfffffc10, v18
	v_med3_i32 v24, v27, 0, 13
	v_cmp_ne_u32_e32 vcc, 0, v4
	v_or_b32_e32 v28, 0x1000, v19
	v_lshrrev_b32_e32 v30, v16, v26
	v_add_u32_e32 v25, 0xfffffc10, v25
	v_lshl_or_b32 v27, v18, 12, v4
	v_cndmask_b32_e64 v4, 0, 1, vcc
	v_cmp_ne_u32_e32 vcc, 0, v19
	v_lshrrev_b32_e32 v31, v24, v28
	v_lshlrev_b32_e32 v16, v16, v30
	v_lshl_or_b32 v29, v25, 12, v19
	v_cndmask_b32_e64 v19, 0, 1, vcc
	v_lshlrev_b32_e32 v24, v24, v31
	v_cmp_ne_u32_e32 vcc, v16, v26
	v_cndmask_b32_e64 v16, 0, 1, vcc
	v_cmp_ne_u32_e32 vcc, v24, v28
	v_cndmask_b32_e64 v24, 0, 1, vcc
	v_or_b32_e32 v16, v30, v16
	v_cmp_gt_i32_e32 vcc, 1, v18
	v_cndmask_b32_e32 v16, v27, v16, vcc
	v_or_b32_e32 v24, v31, v24
	v_cmp_gt_i32_e32 vcc, 1, v25
	v_and_b32_e32 v26, 7, v16
	v_cndmask_b32_e32 v24, v29, v24, vcc
	v_cmp_lt_i32_e32 vcc, 5, v26
	v_cmp_eq_u32_e64 s[0:1], 3, v26
	v_lshrrev_b32_e32 v16, 2, v16
	v_and_b32_e32 v27, 7, v24
	s_or_b64 vcc, s[0:1], vcc
	v_cmp_lt_i32_e64 s[2:3], 5, v27
	v_cmp_eq_u32_e64 s[4:5], 3, v27
	v_addc_co_u32_e32 v16, vcc, 0, v16, vcc
	v_lshrrev_b32_e32 v24, 2, v24
	s_or_b64 vcc, s[4:5], s[2:3]
	v_addc_co_u32_e32 v24, vcc, 0, v24, vcc
	v_cmp_gt_i32_e32 vcc, 31, v18
	v_cndmask_b32_e32 v16, v7, v16, vcc
	v_cmp_gt_i32_e32 vcc, 31, v25
	v_lshl_or_b32 v4, v4, 9, v7
	v_cndmask_b32_e32 v24, v7, v24, vcc
	v_cmp_eq_u32_e32 vcc, s16, v18
	v_lshrrev_b32_e32 v17, 16, v17
	v_lshl_or_b32 v19, v19, 9, v7
	v_cndmask_b32_e32 v4, v16, v4, vcc
	v_cmp_eq_u32_e32 vcc, s16, v25
	v_lshrrev_b32_e32 v20, 16, v20
	v_cndmask_b32_e32 v16, v24, v19, vcc
	v_and_or_b32 v4, v17, s10, v4
	v_and_or_b32 v16, v20, s10, v16
	v_and_b32_e32 v4, 0xffff, v4
	v_lshl_or_b32 v4, v16, 16, v4
	v_mul_f64 v[16:17], v[21:22], s[14:15]
	v_mov_b32_e32 v18, s13
	v_add_co_u32_e32 v19, vcc, s12, v2
	v_addc_co_u32_e32 v18, vcc, v18, v3, vcc
	v_lshlrev_b64 v[2:3], 2, v[5:6]
	s_mul_hi_u32 s2, s8, 0xd8
	v_add_co_u32_e32 v2, vcc, v19, v2
	v_addc_co_u32_e32 v3, vcc, v18, v3, vcc
	global_store_dword v[2:3], v4, off
	v_and_or_b32 v4, v17, s18, v16
	v_cmp_ne_u32_e32 vcc, 0, v4
	v_cndmask_b32_e64 v4, 0, 1, vcc
	v_lshrrev_b32_e32 v5, 8, v17
	v_and_or_b32 v6, v5, s17, v4
	v_bfe_u32 v5, v17, 20, 11
	v_sub_u32_e32 v16, 0x3f1, v5
	v_or_b32_e32 v4, 0x1000, v6
	v_med3_i32 v16, v16, 0, 13
	v_lshrrev_b32_e32 v18, v16, v4
	v_lshlrev_b32_e32 v16, v16, v18
	v_cmp_ne_u32_e32 vcc, v16, v4
	v_cndmask_b32_e64 v4, 0, 1, vcc
	v_add_u32_e32 v16, 0xfffffc10, v5
	v_or_b32_e32 v4, v18, v4
	v_lshl_or_b32 v5, v16, 12, v6
	v_cmp_gt_i32_e32 vcc, 1, v16
	v_cndmask_b32_e32 v4, v5, v4, vcc
	v_and_b32_e32 v5, 7, v4
	v_cmp_lt_i32_e32 vcc, 5, v5
	v_cmp_eq_u32_e64 s[0:1], 3, v5
	v_lshrrev_b32_e32 v9, 2, v4
	v_cvt_f64_f32_e32 v[4:5], v0
	s_or_b64 vcc, s[0:1], vcc
	v_addc_co_u32_e32 v0, vcc, 0, v9, vcc
	v_mul_f64 v[4:5], v[4:5], s[14:15]
	v_cmp_gt_i32_e32 vcc, 31, v16
	v_cndmask_b32_e32 v0, v7, v0, vcc
	v_cmp_ne_u32_e32 vcc, 0, v6
	v_cndmask_b32_e64 v6, 0, 1, vcc
	v_lshl_or_b32 v6, v6, 9, v7
	v_cmp_eq_u32_e32 vcc, s16, v16
	v_cndmask_b32_e32 v0, v0, v6, vcc
	v_and_or_b32 v4, v5, s18, v4
	v_lshrrev_b32_e32 v6, 16, v17
	v_cmp_ne_u32_e32 vcc, 0, v4
	v_and_or_b32 v0, v6, s10, v0
	v_cndmask_b32_e64 v4, 0, 1, vcc
	v_lshrrev_b32_e32 v6, 8, v5
	v_bfe_u32 v9, v5, 20, 11
	v_and_or_b32 v4, v6, s17, v4
	v_sub_u32_e32 v10, 0x3f1, v9
	v_or_b32_e32 v6, 0x1000, v4
	v_med3_i32 v10, v10, 0, 13
	v_lshrrev_b32_e32 v16, v10, v6
	v_lshlrev_b32_e32 v10, v10, v16
	v_cmp_ne_u32_e32 vcc, v10, v6
	v_cndmask_b32_e64 v6, 0, 1, vcc
	v_add_u32_e32 v9, 0xfffffc10, v9
	v_or_b32_e32 v6, v16, v6
	v_lshl_or_b32 v10, v9, 12, v4
	v_cmp_gt_i32_e32 vcc, 1, v9
	v_cndmask_b32_e32 v6, v10, v6, vcc
	v_and_b32_e32 v10, 7, v6
	v_cmp_lt_i32_e32 vcc, 5, v10
	v_cmp_eq_u32_e64 s[0:1], 3, v10
	v_lshrrev_b32_e32 v6, 2, v6
	s_or_b64 vcc, s[0:1], vcc
	v_addc_co_u32_e32 v6, vcc, 0, v6, vcc
	v_cmp_gt_i32_e32 vcc, 31, v9
	v_cndmask_b32_e32 v6, v7, v6, vcc
	v_cmp_ne_u32_e32 vcc, 0, v4
	v_cndmask_b32_e64 v4, 0, 1, vcc
	v_lshl_or_b32 v4, v4, 9, v7
	v_cmp_eq_u32_e32 vcc, s16, v9
	v_cndmask_b32_e32 v4, v6, v4, vcc
	v_lshrrev_b32_e32 v6, 16, v1
	s_waitcnt vmcnt(6)
	v_mul_f16_sdwa v9, v6, v11 dst_sel:DWORD dst_unused:UNUSED_PAD src0_sel:DWORD src1_sel:WORD_1
	v_fma_f16 v9, v1, v11, v9
	v_cvt_f32_f16_e32 v9, v9
	v_lshrrev_b32_e32 v5, 16, v5
	v_and_or_b32 v4, v5, s10, v4
	v_and_b32_e32 v0, 0xffff, v0
	v_lshl_or_b32 v0, v4, 16, v0
	v_cvt_f64_f32_e32 v[4:5], v9
	s_mul_i32 s0, s9, 0xd8
	s_add_i32 s2, s2, s0
	s_mul_i32 s3, s8, 0xd8
	v_mul_f64 v[4:5], v[4:5], s[14:15]
	v_mov_b32_e32 v9, s2
	v_add_co_u32_e32 v2, vcc, s3, v2
	v_addc_co_u32_e32 v3, vcc, v3, v9, vcc
	global_store_dword v[2:3], v0, off
	v_mul_f16_sdwa v1, v1, v11 dst_sel:DWORD dst_unused:UNUSED_PAD src0_sel:DWORD src1_sel:WORD_1
	v_and_or_b32 v0, v5, s18, v4
	v_cmp_ne_u32_e32 vcc, 0, v0
	v_cndmask_b32_e64 v0, 0, 1, vcc
	v_lshrrev_b32_e32 v4, 8, v5
	v_bfe_u32 v9, v5, 20, 11
	v_and_or_b32 v4, v4, s17, v0
	v_sub_u32_e32 v10, 0x3f1, v9
	v_or_b32_e32 v0, 0x1000, v4
	v_med3_i32 v10, v10, 0, 13
	v_lshrrev_b32_e32 v16, v10, v0
	v_lshlrev_b32_e32 v10, v10, v16
	v_fma_f16 v1, v11, v6, -v1
	v_cmp_ne_u32_e32 vcc, v10, v0
	v_cvt_f32_f16_e32 v1, v1
	v_cndmask_b32_e64 v0, 0, 1, vcc
	v_add_u32_e32 v9, 0xfffffc10, v9
	v_or_b32_e32 v0, v16, v0
	v_lshl_or_b32 v10, v9, 12, v4
	v_cmp_gt_i32_e32 vcc, 1, v9
	v_cndmask_b32_e32 v0, v10, v0, vcc
	v_and_b32_e32 v10, 7, v0
	v_lshrrev_b32_e32 v6, 2, v0
	v_cvt_f64_f32_e32 v[0:1], v1
	v_cmp_lt_i32_e32 vcc, 5, v10
	v_cmp_eq_u32_e64 s[0:1], 3, v10
	s_or_b64 vcc, s[0:1], vcc
	v_mul_f64 v[0:1], v[0:1], s[14:15]
	v_addc_co_u32_e32 v6, vcc, 0, v6, vcc
	v_cmp_gt_i32_e32 vcc, 31, v9
	v_cndmask_b32_e32 v6, v7, v6, vcc
	v_cmp_ne_u32_e32 vcc, 0, v4
	v_cndmask_b32_e64 v4, 0, 1, vcc
	v_lshl_or_b32 v4, v4, 9, v7
	v_cmp_eq_u32_e32 vcc, s16, v9
	v_and_or_b32 v0, v1, s18, v0
	v_cndmask_b32_e32 v4, v6, v4, vcc
	v_lshrrev_b32_e32 v5, 16, v5
	v_cmp_ne_u32_e32 vcc, 0, v0
	v_and_or_b32 v6, v5, s10, v4
	v_cndmask_b32_e64 v0, 0, 1, vcc
	v_lshrrev_b32_e32 v4, 8, v1
	v_bfe_u32 v5, v1, 20, 11
	v_and_or_b32 v0, v4, s17, v0
	v_sub_u32_e32 v9, 0x3f1, v5
	v_or_b32_e32 v4, 0x1000, v0
	v_med3_i32 v9, v9, 0, 13
	v_lshrrev_b32_e32 v10, v9, v4
	v_lshlrev_b32_e32 v9, v9, v10
	v_cmp_ne_u32_e32 vcc, v9, v4
	v_cndmask_b32_e64 v4, 0, 1, vcc
	v_add_u32_e32 v9, 0xfffffc10, v5
	v_or_b32_e32 v4, v10, v4
	v_lshl_or_b32 v5, v9, 12, v0
	v_cmp_gt_i32_e32 vcc, 1, v9
	v_cndmask_b32_e32 v4, v5, v4, vcc
	v_and_b32_e32 v5, 7, v4
	v_cmp_lt_i32_e32 vcc, 5, v5
	v_cmp_eq_u32_e64 s[0:1], 3, v5
	v_lshrrev_b32_e32 v4, 2, v4
	s_or_b64 vcc, s[0:1], vcc
	v_addc_co_u32_e32 v10, vcc, 0, v4, vcc
	ds_read2_b32 v[4:5], v23 offset0:162 offset1:216
	v_cmp_gt_i32_e32 vcc, 31, v9
	v_cndmask_b32_e32 v10, v7, v10, vcc
	v_cmp_ne_u32_e32 vcc, 0, v0
	v_cndmask_b32_e64 v0, 0, 1, vcc
	s_waitcnt lgkmcnt(0)
	v_lshrrev_b32_e32 v11, 16, v4
	s_waitcnt vmcnt(6)
	v_mul_f16_sdwa v16, v11, v12 dst_sel:DWORD dst_unused:UNUSED_PAD src0_sel:DWORD src1_sel:WORD_1
	v_fma_f16 v16, v4, v12, v16
	v_cvt_f32_f16_e32 v16, v16
	v_lshl_or_b32 v0, v0, 9, v7
	v_cmp_eq_u32_e32 vcc, s16, v9
	v_cndmask_b32_e32 v0, v10, v0, vcc
	v_cvt_f64_f32_e32 v[9:10], v16
	v_lshrrev_b32_e32 v1, 16, v1
	v_and_or_b32 v16, v1, s10, v0
	v_add_co_u32_e32 v2, vcc, s3, v2
	v_mul_f64 v[0:1], v[9:10], s[14:15]
	v_mov_b32_e32 v9, s2
	v_and_b32_e32 v6, 0xffff, v6
	v_addc_co_u32_e32 v3, vcc, v3, v9, vcc
	v_lshl_or_b32 v6, v16, 16, v6
	global_store_dword v[2:3], v6, off
	v_mul_f16_sdwa v4, v4, v12 dst_sel:DWORD dst_unused:UNUSED_PAD src0_sel:DWORD src1_sel:WORD_1
	v_and_or_b32 v0, v1, s18, v0
	v_cmp_ne_u32_e32 vcc, 0, v0
	v_cndmask_b32_e64 v0, 0, 1, vcc
	v_lshrrev_b32_e32 v6, 8, v1
	v_bfe_u32 v9, v1, 20, 11
	v_and_or_b32 v0, v6, s17, v0
	v_sub_u32_e32 v10, 0x3f1, v9
	v_or_b32_e32 v6, 0x1000, v0
	v_med3_i32 v10, v10, 0, 13
	v_lshrrev_b32_e32 v16, v10, v6
	v_lshlrev_b32_e32 v10, v10, v16
	v_cmp_ne_u32_e32 vcc, v10, v6
	v_cndmask_b32_e64 v6, 0, 1, vcc
	v_fma_f16 v4, v12, v11, -v4
	v_or_b32_e32 v6, v16, v6
	v_add_u32_e32 v16, 0xfffffc10, v9
	v_cvt_f32_f16_e32 v4, v4
	v_lshl_or_b32 v9, v16, 12, v0
	v_cmp_gt_i32_e32 vcc, 1, v16
	v_cndmask_b32_e32 v6, v9, v6, vcc
	v_and_b32_e32 v9, 7, v6
	v_cmp_lt_i32_e32 vcc, 5, v9
	v_cmp_eq_u32_e64 s[0:1], 3, v9
	v_cvt_f64_f32_e32 v[9:10], v4
	v_lshrrev_b32_e32 v6, 2, v6
	s_or_b64 vcc, s[0:1], vcc
	v_addc_co_u32_e32 v4, vcc, 0, v6, vcc
	v_mul_f64 v[9:10], v[9:10], s[14:15]
	v_cmp_gt_i32_e32 vcc, 31, v16
	v_cndmask_b32_e32 v4, v7, v4, vcc
	v_cmp_ne_u32_e32 vcc, 0, v0
	v_cndmask_b32_e64 v0, 0, 1, vcc
	v_lshl_or_b32 v0, v0, 9, v7
	v_cmp_eq_u32_e32 vcc, s16, v16
	v_cndmask_b32_e32 v0, v4, v0, vcc
	v_lshrrev_b32_e32 v1, 16, v1
	v_and_or_b32 v4, v1, s10, v0
	v_and_or_b32 v0, v10, s18, v9
	v_cmp_ne_u32_e32 vcc, 0, v0
	v_cndmask_b32_e64 v0, 0, 1, vcc
	v_lshrrev_b32_e32 v1, 8, v10
	v_bfe_u32 v6, v10, 20, 11
	v_and_or_b32 v0, v1, s17, v0
	v_sub_u32_e32 v9, 0x3f1, v6
	v_or_b32_e32 v1, 0x1000, v0
	v_med3_i32 v9, v9, 0, 13
	v_lshrrev_b32_e32 v11, v9, v1
	v_lshlrev_b32_e32 v9, v9, v11
	v_cmp_ne_u32_e32 vcc, v9, v1
	v_cndmask_b32_e64 v1, 0, 1, vcc
	v_add_u32_e32 v6, 0xfffffc10, v6
	v_or_b32_e32 v1, v11, v1
	v_lshl_or_b32 v9, v6, 12, v0
	v_cmp_gt_i32_e32 vcc, 1, v6
	v_cndmask_b32_e32 v1, v9, v1, vcc
	v_and_b32_e32 v9, 7, v1
	v_cmp_lt_i32_e32 vcc, 5, v9
	v_cmp_eq_u32_e64 s[0:1], 3, v9
	v_lshrrev_b32_e32 v9, 16, v5
	v_lshrrev_b32_e32 v1, 2, v1
	s_or_b64 vcc, s[0:1], vcc
	s_waitcnt vmcnt(6)
	v_mul_f16_sdwa v11, v9, v13 dst_sel:DWORD dst_unused:UNUSED_PAD src0_sel:DWORD src1_sel:WORD_1
	v_addc_co_u32_e32 v1, vcc, 0, v1, vcc
	v_fma_f16 v11, v5, v13, v11
	v_cmp_gt_i32_e32 vcc, 31, v6
	v_cvt_f32_f16_e32 v11, v11
	v_cndmask_b32_e32 v1, v7, v1, vcc
	v_cmp_ne_u32_e32 vcc, 0, v0
	v_cndmask_b32_e64 v0, 0, 1, vcc
	v_lshl_or_b32 v0, v0, 9, v7
	v_cmp_eq_u32_e32 vcc, s16, v6
	v_cndmask_b32_e32 v6, v1, v0, vcc
	v_cvt_f64_f32_e32 v[0:1], v11
	v_lshrrev_b32_e32 v10, 16, v10
	v_and_or_b32 v6, v10, s10, v6
	v_and_b32_e32 v4, 0xffff, v4
	v_mul_f64 v[0:1], v[0:1], s[14:15]
	v_lshl_or_b32 v4, v6, 16, v4
	v_mov_b32_e32 v6, s2
	v_add_co_u32_e32 v2, vcc, s3, v2
	v_addc_co_u32_e32 v3, vcc, v3, v6, vcc
	global_store_dword v[2:3], v4, off
	v_and_or_b32 v0, v1, s18, v0
	v_cmp_ne_u32_e32 vcc, 0, v0
	v_cndmask_b32_e64 v0, 0, 1, vcc
	v_lshrrev_b32_e32 v4, 8, v1
	v_bfe_u32 v6, v1, 20, 11
	v_and_or_b32 v0, v4, s17, v0
	v_sub_u32_e32 v10, 0x3f1, v6
	v_or_b32_e32 v4, 0x1000, v0
	v_med3_i32 v10, v10, 0, 13
	v_lshrrev_b32_e32 v11, v10, v4
	v_mul_f16_sdwa v5, v5, v13 dst_sel:DWORD dst_unused:UNUSED_PAD src0_sel:DWORD src1_sel:WORD_1
	v_lshlrev_b32_e32 v10, v10, v11
	v_fma_f16 v5, v13, v9, -v5
	v_cmp_ne_u32_e32 vcc, v10, v4
	v_cvt_f32_f16_e32 v5, v5
	v_cndmask_b32_e64 v4, 0, 1, vcc
	v_add_u32_e32 v6, 0xfffffc10, v6
	v_or_b32_e32 v4, v11, v4
	v_lshl_or_b32 v10, v6, 12, v0
	v_cmp_gt_i32_e32 vcc, 1, v6
	v_cndmask_b32_e32 v4, v10, v4, vcc
	v_and_b32_e32 v10, 7, v4
	v_lshrrev_b32_e32 v9, 2, v4
	v_cvt_f64_f32_e32 v[4:5], v5
	v_cmp_lt_i32_e32 vcc, 5, v10
	v_cmp_eq_u32_e64 s[0:1], 3, v10
	s_or_b64 vcc, s[0:1], vcc
	v_mul_f64 v[4:5], v[4:5], s[14:15]
	v_addc_co_u32_e32 v9, vcc, 0, v9, vcc
	v_cmp_gt_i32_e32 vcc, 31, v6
	v_cndmask_b32_e32 v9, v7, v9, vcc
	v_cmp_ne_u32_e32 vcc, 0, v0
	v_cndmask_b32_e64 v0, 0, 1, vcc
	v_lshl_or_b32 v0, v0, 9, v7
	v_cmp_eq_u32_e32 vcc, s16, v6
	v_cndmask_b32_e32 v0, v9, v0, vcc
	v_lshrrev_b32_e32 v1, 16, v1
	v_and_or_b32 v6, v1, s10, v0
	v_and_or_b32 v0, v5, s18, v4
	v_cmp_ne_u32_e32 vcc, 0, v0
	v_cndmask_b32_e64 v0, 0, 1, vcc
	v_lshrrev_b32_e32 v1, 8, v5
	v_and_or_b32 v4, v1, s17, v0
	v_bfe_u32 v1, v5, 20, 11
	v_sub_u32_e32 v9, 0x3f1, v1
	v_or_b32_e32 v0, 0x1000, v4
	v_med3_i32 v9, v9, 0, 13
	v_lshrrev_b32_e32 v10, v9, v0
	v_lshlrev_b32_e32 v9, v9, v10
	v_cmp_ne_u32_e32 vcc, v9, v0
	v_cndmask_b32_e64 v0, 0, 1, vcc
	v_add_u32_e32 v9, 0xfffffc10, v1
	v_or_b32_e32 v0, v10, v0
	v_lshl_or_b32 v1, v9, 12, v4
	v_cmp_gt_i32_e32 vcc, 1, v9
	v_cndmask_b32_e32 v0, v1, v0, vcc
	v_and_b32_e32 v1, 7, v0
	v_cmp_lt_i32_e32 vcc, 5, v1
	v_cmp_eq_u32_e64 s[0:1], 3, v1
	v_lshrrev_b32_e32 v0, 2, v0
	s_or_b64 vcc, s[0:1], vcc
	v_add_u32_e32 v11, 0x400, v23
	v_addc_co_u32_e32 v10, vcc, 0, v0, vcc
	ds_read2_b32 v[0:1], v11 offset0:14 offset1:68
	v_cmp_gt_i32_e32 vcc, 31, v9
	v_cndmask_b32_e32 v10, v7, v10, vcc
	v_cmp_ne_u32_e32 vcc, 0, v4
	v_cndmask_b32_e64 v4, 0, 1, vcc
	s_waitcnt lgkmcnt(0)
	v_lshrrev_b32_e32 v12, 16, v0
	s_waitcnt vmcnt(6)
	v_mul_f16_sdwa v13, v12, v14 dst_sel:DWORD dst_unused:UNUSED_PAD src0_sel:DWORD src1_sel:WORD_1
	v_fma_f16 v13, v0, v14, v13
	v_cvt_f32_f16_e32 v13, v13
	v_lshl_or_b32 v4, v4, 9, v7
	v_cmp_eq_u32_e32 vcc, s16, v9
	v_cndmask_b32_e32 v4, v10, v4, vcc
	v_cvt_f64_f32_e32 v[9:10], v13
	v_lshrrev_b32_e32 v5, 16, v5
	v_and_or_b32 v13, v5, s10, v4
	v_add_co_u32_e32 v2, vcc, s3, v2
	v_mul_f64 v[4:5], v[9:10], s[14:15]
	v_mov_b32_e32 v9, s2
	v_and_b32_e32 v6, 0xffff, v6
	v_addc_co_u32_e32 v3, vcc, v3, v9, vcc
	v_lshl_or_b32 v6, v13, 16, v6
	global_store_dword v[2:3], v6, off
	v_mul_f16_sdwa v0, v0, v14 dst_sel:DWORD dst_unused:UNUSED_PAD src0_sel:DWORD src1_sel:WORD_1
	v_and_or_b32 v4, v5, s18, v4
	v_cmp_ne_u32_e32 vcc, 0, v4
	v_cndmask_b32_e64 v4, 0, 1, vcc
	v_lshrrev_b32_e32 v6, 8, v5
	v_bfe_u32 v9, v5, 20, 11
	v_and_or_b32 v4, v6, s17, v4
	v_sub_u32_e32 v10, 0x3f1, v9
	v_or_b32_e32 v6, 0x1000, v4
	v_med3_i32 v10, v10, 0, 13
	v_lshrrev_b32_e32 v13, v10, v6
	v_lshlrev_b32_e32 v10, v10, v13
	v_cmp_ne_u32_e32 vcc, v10, v6
	v_cndmask_b32_e64 v6, 0, 1, vcc
	v_fma_f16 v0, v14, v12, -v0
	v_or_b32_e32 v6, v13, v6
	v_add_u32_e32 v13, 0xfffffc10, v9
	v_cvt_f32_f16_e32 v0, v0
	v_lshl_or_b32 v9, v13, 12, v4
	v_cmp_gt_i32_e32 vcc, 1, v13
	v_cndmask_b32_e32 v6, v9, v6, vcc
	v_and_b32_e32 v9, 7, v6
	v_cmp_lt_i32_e32 vcc, 5, v9
	v_cmp_eq_u32_e64 s[0:1], 3, v9
	v_cvt_f64_f32_e32 v[9:10], v0
	v_lshrrev_b32_e32 v6, 2, v6
	s_or_b64 vcc, s[0:1], vcc
	v_addc_co_u32_e32 v0, vcc, 0, v6, vcc
	v_mul_f64 v[9:10], v[9:10], s[14:15]
	v_cmp_gt_i32_e32 vcc, 31, v13
	v_cndmask_b32_e32 v0, v7, v0, vcc
	v_cmp_ne_u32_e32 vcc, 0, v4
	v_cndmask_b32_e64 v4, 0, 1, vcc
	v_lshl_or_b32 v4, v4, 9, v7
	v_cmp_eq_u32_e32 vcc, s16, v13
	v_cndmask_b32_e32 v0, v0, v4, vcc
	v_lshrrev_b32_e32 v4, 16, v5
	v_and_or_b32 v0, v4, s10, v0
	v_and_or_b32 v4, v10, s18, v9
	v_cmp_ne_u32_e32 vcc, 0, v4
	v_cndmask_b32_e64 v4, 0, 1, vcc
	v_lshrrev_b32_e32 v5, 8, v10
	v_bfe_u32 v6, v10, 20, 11
	v_and_or_b32 v4, v5, s17, v4
	v_sub_u32_e32 v9, 0x3f1, v6
	v_or_b32_e32 v5, 0x1000, v4
	v_med3_i32 v9, v9, 0, 13
	v_lshrrev_b32_e32 v12, v9, v5
	v_lshlrev_b32_e32 v9, v9, v12
	v_cmp_ne_u32_e32 vcc, v9, v5
	v_cndmask_b32_e64 v5, 0, 1, vcc
	v_add_u32_e32 v6, 0xfffffc10, v6
	v_or_b32_e32 v5, v12, v5
	v_lshl_or_b32 v9, v6, 12, v4
	v_cmp_gt_i32_e32 vcc, 1, v6
	v_cndmask_b32_e32 v5, v9, v5, vcc
	v_and_b32_e32 v9, 7, v5
	v_cmp_lt_i32_e32 vcc, 5, v9
	v_cmp_eq_u32_e64 s[0:1], 3, v9
	v_lshrrev_b32_e32 v9, 16, v1
	v_lshrrev_b32_e32 v5, 2, v5
	s_or_b64 vcc, s[0:1], vcc
	s_waitcnt vmcnt(6)
	v_mul_f16_sdwa v12, v9, v15 dst_sel:DWORD dst_unused:UNUSED_PAD src0_sel:DWORD src1_sel:WORD_1
	v_addc_co_u32_e32 v5, vcc, 0, v5, vcc
	v_fma_f16 v12, v1, v15, v12
	v_cmp_gt_i32_e32 vcc, 31, v6
	v_cvt_f32_f16_e32 v12, v12
	v_cndmask_b32_e32 v5, v7, v5, vcc
	v_cmp_ne_u32_e32 vcc, 0, v4
	v_cndmask_b32_e64 v4, 0, 1, vcc
	v_lshl_or_b32 v4, v4, 9, v7
	v_cmp_eq_u32_e32 vcc, s16, v6
	v_cndmask_b32_e32 v6, v5, v4, vcc
	v_cvt_f64_f32_e32 v[4:5], v12
	v_lshrrev_b32_e32 v10, 16, v10
	v_and_or_b32 v6, v10, s10, v6
	v_and_b32_e32 v0, 0xffff, v0
	v_mul_f64 v[4:5], v[4:5], s[14:15]
	v_lshl_or_b32 v0, v6, 16, v0
	v_mov_b32_e32 v6, s2
	v_add_co_u32_e32 v2, vcc, s3, v2
	v_addc_co_u32_e32 v3, vcc, v3, v6, vcc
	global_store_dword v[2:3], v0, off
	v_and_or_b32 v0, v5, s18, v4
	v_cmp_ne_u32_e32 vcc, 0, v0
	v_cndmask_b32_e64 v0, 0, 1, vcc
	v_lshrrev_b32_e32 v4, 8, v5
	v_bfe_u32 v6, v5, 20, 11
	v_and_or_b32 v4, v4, s17, v0
	v_sub_u32_e32 v10, 0x3f1, v6
	v_or_b32_e32 v0, 0x1000, v4
	v_med3_i32 v10, v10, 0, 13
	v_lshrrev_b32_e32 v12, v10, v0
	v_mul_f16_sdwa v1, v1, v15 dst_sel:DWORD dst_unused:UNUSED_PAD src0_sel:DWORD src1_sel:WORD_1
	v_lshlrev_b32_e32 v10, v10, v12
	v_fma_f16 v1, v15, v9, -v1
	v_cmp_ne_u32_e32 vcc, v10, v0
	v_cvt_f32_f16_e32 v1, v1
	v_cndmask_b32_e64 v0, 0, 1, vcc
	v_add_u32_e32 v6, 0xfffffc10, v6
	v_or_b32_e32 v0, v12, v0
	v_lshl_or_b32 v10, v6, 12, v4
	v_cmp_gt_i32_e32 vcc, 1, v6
	v_cndmask_b32_e32 v0, v10, v0, vcc
	v_and_b32_e32 v10, 7, v0
	v_lshrrev_b32_e32 v9, 2, v0
	v_cvt_f64_f32_e32 v[0:1], v1
	v_cmp_lt_i32_e32 vcc, 5, v10
	v_cmp_eq_u32_e64 s[0:1], 3, v10
	s_or_b64 vcc, s[0:1], vcc
	v_mul_f64 v[0:1], v[0:1], s[14:15]
	v_addc_co_u32_e32 v9, vcc, 0, v9, vcc
	v_cmp_gt_i32_e32 vcc, 31, v6
	v_cndmask_b32_e32 v9, v7, v9, vcc
	v_cmp_ne_u32_e32 vcc, 0, v4
	v_cndmask_b32_e64 v4, 0, 1, vcc
	v_lshl_or_b32 v4, v4, 9, v7
	v_cmp_eq_u32_e32 vcc, s16, v6
	v_and_or_b32 v0, v1, s18, v0
	v_cndmask_b32_e32 v4, v9, v4, vcc
	v_lshrrev_b32_e32 v5, 16, v5
	v_cmp_ne_u32_e32 vcc, 0, v0
	v_and_or_b32 v6, v5, s10, v4
	v_cndmask_b32_e64 v0, 0, 1, vcc
	v_lshrrev_b32_e32 v4, 8, v1
	v_bfe_u32 v5, v1, 20, 11
	v_and_or_b32 v0, v4, s17, v0
	v_sub_u32_e32 v9, 0x3f1, v5
	v_or_b32_e32 v4, 0x1000, v0
	v_med3_i32 v9, v9, 0, 13
	v_lshrrev_b32_e32 v10, v9, v4
	v_lshlrev_b32_e32 v9, v9, v10
	v_cmp_ne_u32_e32 vcc, v9, v4
	v_cndmask_b32_e64 v4, 0, 1, vcc
	v_add_u32_e32 v9, 0xfffffc10, v5
	v_or_b32_e32 v4, v10, v4
	v_lshl_or_b32 v5, v9, 12, v0
	v_cmp_gt_i32_e32 vcc, 1, v9
	v_cndmask_b32_e32 v4, v5, v4, vcc
	v_and_b32_e32 v5, 7, v4
	v_cmp_lt_i32_e32 vcc, 5, v5
	v_cmp_eq_u32_e64 s[0:1], 3, v5
	v_lshrrev_b32_e32 v4, 2, v4
	s_or_b64 vcc, s[0:1], vcc
	v_addc_co_u32_e32 v10, vcc, 0, v4, vcc
	v_cmp_gt_i32_e32 vcc, 31, v9
	v_cndmask_b32_e32 v10, v7, v10, vcc
	v_cmp_ne_u32_e32 vcc, 0, v0
	v_cndmask_b32_e64 v0, 0, 1, vcc
	v_lshl_or_b32 v0, v0, 9, v7
	v_cmp_eq_u32_e32 vcc, s16, v9
	v_cndmask_b32_e32 v9, v10, v0, vcc
	v_lshrrev_b32_e32 v10, 16, v1
	v_and_or_b32 v9, v10, s10, v9
	global_load_dword v10, v23, s[6:7] offset:1728
	ds_read2_b32 v[4:5], v11 offset0:122 offset1:176
	v_and_b32_e32 v6, 0xffff, v6
	v_lshl_or_b32 v6, v9, 16, v6
	v_mov_b32_e32 v9, s2
	v_add_co_u32_e32 v2, vcc, s3, v2
	s_waitcnt lgkmcnt(0)
	v_lshrrev_b32_e32 v11, 16, v4
	s_waitcnt vmcnt(7)
	v_mul_f16_sdwa v12, v11, v8 dst_sel:DWORD dst_unused:UNUSED_PAD src0_sel:DWORD src1_sel:WORD_1
	v_fma_f16 v12, v4, v8, v12
	v_cvt_f32_f16_e32 v12, v12
	v_addc_co_u32_e32 v3, vcc, v3, v9, vcc
	global_store_dword v[2:3], v6, off
	v_cvt_f64_f32_e32 v[0:1], v12
	v_mul_f16_sdwa v4, v4, v8 dst_sel:DWORD dst_unused:UNUSED_PAD src0_sel:DWORD src1_sel:WORD_1
	v_fma_f16 v4, v8, v11, -v4
	v_cvt_f32_f16_e32 v4, v4
	v_mul_f64 v[0:1], v[0:1], s[14:15]
	v_and_or_b32 v0, v1, s18, v0
	v_cmp_ne_u32_e32 vcc, 0, v0
	v_cndmask_b32_e64 v0, 0, 1, vcc
	v_lshrrev_b32_e32 v6, 8, v1
	v_bfe_u32 v9, v1, 20, 11
	v_and_or_b32 v0, v6, s17, v0
	v_sub_u32_e32 v12, 0x3f1, v9
	v_or_b32_e32 v6, 0x1000, v0
	v_med3_i32 v12, v12, 0, 13
	v_lshrrev_b32_e32 v13, v12, v6
	v_lshlrev_b32_e32 v12, v12, v13
	v_cmp_ne_u32_e32 vcc, v12, v6
	v_cndmask_b32_e64 v6, 0, 1, vcc
	v_add_u32_e32 v12, 0xfffffc10, v9
	v_or_b32_e32 v6, v13, v6
	v_lshl_or_b32 v9, v12, 12, v0
	v_cmp_gt_i32_e32 vcc, 1, v12
	v_cndmask_b32_e32 v6, v9, v6, vcc
	v_and_b32_e32 v9, 7, v6
	v_cmp_lt_i32_e32 vcc, 5, v9
	v_cmp_eq_u32_e64 s[0:1], 3, v9
	v_cvt_f64_f32_e32 v[8:9], v4
	v_lshrrev_b32_e32 v6, 2, v6
	s_or_b64 vcc, s[0:1], vcc
	v_addc_co_u32_e32 v4, vcc, 0, v6, vcc
	v_mul_f64 v[8:9], v[8:9], s[14:15]
	v_cmp_gt_i32_e32 vcc, 31, v12
	v_cndmask_b32_e32 v4, v7, v4, vcc
	v_cmp_ne_u32_e32 vcc, 0, v0
	v_cndmask_b32_e64 v0, 0, 1, vcc
	v_lshl_or_b32 v0, v0, 9, v7
	v_cmp_eq_u32_e32 vcc, s16, v12
	v_cndmask_b32_e32 v0, v4, v0, vcc
	v_lshrrev_b32_e32 v1, 16, v1
	v_and_or_b32 v4, v1, s10, v0
	v_and_or_b32 v0, v9, s18, v8
	v_cmp_ne_u32_e32 vcc, 0, v0
	v_cndmask_b32_e64 v0, 0, 1, vcc
	v_lshrrev_b32_e32 v1, 8, v9
	v_bfe_u32 v6, v9, 20, 11
	v_and_or_b32 v0, v1, s17, v0
	v_sub_u32_e32 v8, 0x3f1, v6
	v_or_b32_e32 v1, 0x1000, v0
	v_med3_i32 v8, v8, 0, 13
	v_lshrrev_b32_e32 v11, v8, v1
	v_lshlrev_b32_e32 v8, v8, v11
	v_cmp_ne_u32_e32 vcc, v8, v1
	v_cndmask_b32_e64 v1, 0, 1, vcc
	v_or_b32_e32 v1, v11, v1
	global_load_dword v11, v23, s[6:7] offset:1944
	global_load_dword v12, v23, s[6:7] offset:2160
	v_add_u32_e32 v6, 0xfffffc10, v6
	v_lshl_or_b32 v8, v6, 12, v0
	v_cmp_gt_i32_e32 vcc, 1, v6
	v_cndmask_b32_e32 v1, v8, v1, vcc
	v_and_b32_e32 v8, 7, v1
	v_cmp_lt_i32_e32 vcc, 5, v8
	v_cmp_eq_u32_e64 s[0:1], 3, v8
	v_lshrrev_b32_e32 v8, 16, v5
	v_lshrrev_b32_e32 v1, 2, v1
	s_or_b64 vcc, s[0:1], vcc
	s_waitcnt vmcnt(3)
	v_mul_f16_sdwa v13, v8, v10 dst_sel:DWORD dst_unused:UNUSED_PAD src0_sel:DWORD src1_sel:WORD_1
	v_addc_co_u32_e32 v1, vcc, 0, v1, vcc
	v_fma_f16 v13, v5, v10, v13
	v_cmp_gt_i32_e32 vcc, 31, v6
	v_cvt_f32_f16_e32 v13, v13
	v_cndmask_b32_e32 v1, v7, v1, vcc
	v_cmp_ne_u32_e32 vcc, 0, v0
	v_cndmask_b32_e64 v0, 0, 1, vcc
	v_lshl_or_b32 v0, v0, 9, v7
	v_cmp_eq_u32_e32 vcc, s16, v6
	v_cndmask_b32_e32 v6, v1, v0, vcc
	v_cvt_f64_f32_e32 v[0:1], v13
	v_lshrrev_b32_e32 v9, 16, v9
	v_and_or_b32 v6, v9, s10, v6
	v_and_b32_e32 v4, 0xffff, v4
	v_mul_f64 v[0:1], v[0:1], s[14:15]
	v_lshl_or_b32 v4, v6, 16, v4
	v_mov_b32_e32 v6, s2
	v_add_co_u32_e32 v2, vcc, s3, v2
	v_addc_co_u32_e32 v3, vcc, v3, v6, vcc
	global_store_dword v[2:3], v4, off
	v_and_or_b32 v0, v1, s18, v0
	v_cmp_ne_u32_e32 vcc, 0, v0
	v_cndmask_b32_e64 v0, 0, 1, vcc
	v_lshrrev_b32_e32 v4, 8, v1
	v_bfe_u32 v6, v1, 20, 11
	v_and_or_b32 v0, v4, s17, v0
	v_sub_u32_e32 v9, 0x3f1, v6
	v_or_b32_e32 v4, 0x1000, v0
	v_med3_i32 v9, v9, 0, 13
	v_lshrrev_b32_e32 v13, v9, v4
	v_mul_f16_sdwa v5, v5, v10 dst_sel:DWORD dst_unused:UNUSED_PAD src0_sel:DWORD src1_sel:WORD_1
	v_lshlrev_b32_e32 v9, v9, v13
	v_fma_f16 v5, v10, v8, -v5
	v_cmp_ne_u32_e32 vcc, v9, v4
	v_cvt_f32_f16_e32 v5, v5
	v_cndmask_b32_e64 v4, 0, 1, vcc
	v_add_u32_e32 v6, 0xfffffc10, v6
	v_or_b32_e32 v4, v13, v4
	v_lshl_or_b32 v9, v6, 12, v0
	v_cmp_gt_i32_e32 vcc, 1, v6
	v_cndmask_b32_e32 v4, v9, v4, vcc
	v_and_b32_e32 v9, 7, v4
	v_lshrrev_b32_e32 v8, 2, v4
	v_cvt_f64_f32_e32 v[4:5], v5
	v_cmp_lt_i32_e32 vcc, 5, v9
	v_cmp_eq_u32_e64 s[0:1], 3, v9
	s_or_b64 vcc, s[0:1], vcc
	v_mul_f64 v[4:5], v[4:5], s[14:15]
	v_addc_co_u32_e32 v8, vcc, 0, v8, vcc
	v_cmp_gt_i32_e32 vcc, 31, v6
	v_cndmask_b32_e32 v8, v7, v8, vcc
	v_cmp_ne_u32_e32 vcc, 0, v0
	v_cndmask_b32_e64 v0, 0, 1, vcc
	v_lshl_or_b32 v0, v0, 9, v7
	v_cmp_eq_u32_e32 vcc, s16, v6
	v_cndmask_b32_e32 v0, v8, v0, vcc
	v_lshrrev_b32_e32 v1, 16, v1
	v_and_or_b32 v6, v1, s10, v0
	v_and_or_b32 v0, v5, s18, v4
	v_cmp_ne_u32_e32 vcc, 0, v0
	v_cndmask_b32_e64 v0, 0, 1, vcc
	v_lshrrev_b32_e32 v1, 8, v5
	v_and_or_b32 v4, v1, s17, v0
	v_bfe_u32 v1, v5, 20, 11
	v_sub_u32_e32 v8, 0x3f1, v1
	v_or_b32_e32 v0, 0x1000, v4
	v_med3_i32 v8, v8, 0, 13
	v_lshrrev_b32_e32 v9, v8, v0
	v_lshlrev_b32_e32 v8, v8, v9
	v_cmp_ne_u32_e32 vcc, v8, v0
	v_cndmask_b32_e64 v0, 0, 1, vcc
	v_add_u32_e32 v8, 0xfffffc10, v1
	v_or_b32_e32 v0, v9, v0
	v_lshl_or_b32 v1, v8, 12, v4
	v_cmp_gt_i32_e32 vcc, 1, v8
	v_cndmask_b32_e32 v0, v1, v0, vcc
	v_and_b32_e32 v1, 7, v0
	v_cmp_lt_i32_e32 vcc, 5, v1
	v_cmp_eq_u32_e64 s[0:1], 3, v1
	v_lshrrev_b32_e32 v0, 2, v0
	s_or_b64 vcc, s[0:1], vcc
	v_addc_co_u32_e32 v9, vcc, 0, v0, vcc
	v_add_u32_e32 v0, 0x600, v23
	ds_read2_b32 v[0:1], v0 offset0:102 offset1:156
	v_cmp_gt_i32_e32 vcc, 31, v8
	v_cndmask_b32_e32 v9, v7, v9, vcc
	v_cmp_ne_u32_e32 vcc, 0, v4
	v_cndmask_b32_e64 v4, 0, 1, vcc
	s_waitcnt lgkmcnt(0)
	v_lshrrev_b32_e32 v10, 16, v0
	s_waitcnt vmcnt(2)
	v_mul_f16_sdwa v13, v10, v11 dst_sel:DWORD dst_unused:UNUSED_PAD src0_sel:DWORD src1_sel:WORD_1
	v_fma_f16 v13, v0, v11, v13
	v_cvt_f32_f16_e32 v13, v13
	v_lshl_or_b32 v4, v4, 9, v7
	v_cmp_eq_u32_e32 vcc, s16, v8
	v_cndmask_b32_e32 v4, v9, v4, vcc
	v_cvt_f64_f32_e32 v[8:9], v13
	v_lshrrev_b32_e32 v5, 16, v5
	v_and_or_b32 v13, v5, s10, v4
	v_add_co_u32_e32 v2, vcc, s3, v2
	v_mul_f64 v[4:5], v[8:9], s[14:15]
	v_mov_b32_e32 v8, s2
	v_and_b32_e32 v6, 0xffff, v6
	v_addc_co_u32_e32 v3, vcc, v3, v8, vcc
	v_lshl_or_b32 v6, v13, 16, v6
	global_store_dword v[2:3], v6, off
	v_mul_f16_sdwa v0, v0, v11 dst_sel:DWORD dst_unused:UNUSED_PAD src0_sel:DWORD src1_sel:WORD_1
	v_and_or_b32 v4, v5, s18, v4
	v_cmp_ne_u32_e32 vcc, 0, v4
	v_cndmask_b32_e64 v4, 0, 1, vcc
	v_lshrrev_b32_e32 v6, 8, v5
	v_bfe_u32 v8, v5, 20, 11
	v_and_or_b32 v4, v6, s17, v4
	v_sub_u32_e32 v9, 0x3f1, v8
	v_or_b32_e32 v6, 0x1000, v4
	v_med3_i32 v9, v9, 0, 13
	v_lshrrev_b32_e32 v13, v9, v6
	v_lshlrev_b32_e32 v9, v9, v13
	v_cmp_ne_u32_e32 vcc, v9, v6
	v_cndmask_b32_e64 v6, 0, 1, vcc
	v_fma_f16 v0, v11, v10, -v0
	v_or_b32_e32 v6, v13, v6
	v_add_u32_e32 v13, 0xfffffc10, v8
	v_cvt_f32_f16_e32 v0, v0
	v_lshl_or_b32 v8, v13, 12, v4
	v_cmp_gt_i32_e32 vcc, 1, v13
	v_cndmask_b32_e32 v6, v8, v6, vcc
	v_and_b32_e32 v8, 7, v6
	v_cmp_lt_i32_e32 vcc, 5, v8
	v_cmp_eq_u32_e64 s[0:1], 3, v8
	v_cvt_f64_f32_e32 v[8:9], v0
	v_lshrrev_b32_e32 v6, 2, v6
	s_or_b64 vcc, s[0:1], vcc
	v_addc_co_u32_e32 v0, vcc, 0, v6, vcc
	v_mul_f64 v[8:9], v[8:9], s[14:15]
	v_cmp_gt_i32_e32 vcc, 31, v13
	v_cndmask_b32_e32 v0, v7, v0, vcc
	v_cmp_ne_u32_e32 vcc, 0, v4
	v_cndmask_b32_e64 v4, 0, 1, vcc
	v_lshl_or_b32 v4, v4, 9, v7
	v_cmp_eq_u32_e32 vcc, s16, v13
	v_cndmask_b32_e32 v0, v0, v4, vcc
	v_lshrrev_b32_e32 v4, 16, v5
	v_and_or_b32 v0, v4, s10, v0
	v_and_or_b32 v4, v9, s18, v8
	v_cmp_ne_u32_e32 vcc, 0, v4
	v_cndmask_b32_e64 v4, 0, 1, vcc
	v_lshrrev_b32_e32 v5, 8, v9
	v_bfe_u32 v6, v9, 20, 11
	v_and_or_b32 v4, v5, s17, v4
	v_sub_u32_e32 v8, 0x3f1, v6
	v_or_b32_e32 v5, 0x1000, v4
	v_med3_i32 v8, v8, 0, 13
	v_lshrrev_b32_e32 v10, v8, v5
	v_lshlrev_b32_e32 v8, v8, v10
	v_cmp_ne_u32_e32 vcc, v8, v5
	v_cndmask_b32_e64 v5, 0, 1, vcc
	v_add_u32_e32 v6, 0xfffffc10, v6
	v_or_b32_e32 v5, v10, v5
	v_lshl_or_b32 v8, v6, 12, v4
	v_cmp_gt_i32_e32 vcc, 1, v6
	v_cndmask_b32_e32 v5, v8, v5, vcc
	v_and_b32_e32 v8, 7, v5
	v_cmp_lt_i32_e32 vcc, 5, v8
	v_cmp_eq_u32_e64 s[0:1], 3, v8
	v_lshrrev_b32_e32 v8, 16, v1
	v_lshrrev_b32_e32 v5, 2, v5
	s_or_b64 vcc, s[0:1], vcc
	s_waitcnt vmcnt(2)
	v_mul_f16_sdwa v10, v8, v12 dst_sel:DWORD dst_unused:UNUSED_PAD src0_sel:DWORD src1_sel:WORD_1
	v_addc_co_u32_e32 v5, vcc, 0, v5, vcc
	v_fma_f16 v10, v1, v12, v10
	v_cmp_gt_i32_e32 vcc, 31, v6
	v_cvt_f32_f16_e32 v10, v10
	v_cndmask_b32_e32 v5, v7, v5, vcc
	v_cmp_ne_u32_e32 vcc, 0, v4
	v_cndmask_b32_e64 v4, 0, 1, vcc
	v_lshl_or_b32 v4, v4, 9, v7
	v_cmp_eq_u32_e32 vcc, s16, v6
	v_cndmask_b32_e32 v6, v5, v4, vcc
	v_cvt_f64_f32_e32 v[4:5], v10
	v_lshrrev_b32_e32 v9, 16, v9
	v_and_or_b32 v6, v9, s10, v6
	v_and_b32_e32 v0, 0xffff, v0
	v_mul_f64 v[4:5], v[4:5], s[14:15]
	v_lshl_or_b32 v0, v6, 16, v0
	v_mov_b32_e32 v6, s2
	v_add_co_u32_e32 v2, vcc, s3, v2
	v_addc_co_u32_e32 v3, vcc, v3, v6, vcc
	global_store_dword v[2:3], v0, off
	v_and_or_b32 v0, v5, s18, v4
	v_cmp_ne_u32_e32 vcc, 0, v0
	v_cndmask_b32_e64 v0, 0, 1, vcc
	v_lshrrev_b32_e32 v4, 8, v5
	v_bfe_u32 v6, v5, 20, 11
	v_and_or_b32 v4, v4, s17, v0
	v_sub_u32_e32 v9, 0x3f1, v6
	v_or_b32_e32 v0, 0x1000, v4
	v_med3_i32 v9, v9, 0, 13
	v_lshrrev_b32_e32 v10, v9, v0
	v_mul_f16_sdwa v1, v1, v12 dst_sel:DWORD dst_unused:UNUSED_PAD src0_sel:DWORD src1_sel:WORD_1
	v_lshlrev_b32_e32 v9, v9, v10
	v_fma_f16 v1, v12, v8, -v1
	v_cmp_ne_u32_e32 vcc, v9, v0
	v_cvt_f32_f16_e32 v1, v1
	v_cndmask_b32_e64 v0, 0, 1, vcc
	v_add_u32_e32 v6, 0xfffffc10, v6
	v_or_b32_e32 v0, v10, v0
	v_lshl_or_b32 v9, v6, 12, v4
	v_cmp_gt_i32_e32 vcc, 1, v6
	v_cndmask_b32_e32 v0, v9, v0, vcc
	v_and_b32_e32 v9, 7, v0
	v_lshrrev_b32_e32 v8, 2, v0
	v_cvt_f64_f32_e32 v[0:1], v1
	v_cmp_lt_i32_e32 vcc, 5, v9
	v_cmp_eq_u32_e64 s[0:1], 3, v9
	s_or_b64 vcc, s[0:1], vcc
	v_mul_f64 v[0:1], v[0:1], s[14:15]
	v_addc_co_u32_e32 v8, vcc, 0, v8, vcc
	v_cmp_gt_i32_e32 vcc, 31, v6
	v_cndmask_b32_e32 v8, v7, v8, vcc
	v_cmp_ne_u32_e32 vcc, 0, v4
	v_cndmask_b32_e64 v4, 0, 1, vcc
	v_lshl_or_b32 v4, v4, 9, v7
	v_cmp_eq_u32_e32 vcc, s16, v6
	v_and_or_b32 v0, v1, s18, v0
	v_cndmask_b32_e32 v4, v8, v4, vcc
	v_lshrrev_b32_e32 v5, 16, v5
	v_cmp_ne_u32_e32 vcc, 0, v0
	v_and_or_b32 v4, v5, s10, v4
	v_cndmask_b32_e64 v0, 0, 1, vcc
	v_lshrrev_b32_e32 v5, 8, v1
	v_bfe_u32 v6, v1, 20, 11
	v_and_or_b32 v0, v5, s17, v0
	v_sub_u32_e32 v8, 0x3f1, v6
	v_or_b32_e32 v5, 0x1000, v0
	v_med3_i32 v8, v8, 0, 13
	v_lshrrev_b32_e32 v9, v8, v5
	v_lshlrev_b32_e32 v8, v8, v9
	v_cmp_ne_u32_e32 vcc, v8, v5
	v_cndmask_b32_e64 v5, 0, 1, vcc
	v_add_u32_e32 v6, 0xfffffc10, v6
	v_or_b32_e32 v5, v9, v5
	v_lshl_or_b32 v8, v6, 12, v0
	v_cmp_gt_i32_e32 vcc, 1, v6
	v_cndmask_b32_e32 v5, v8, v5, vcc
	v_and_b32_e32 v8, 7, v5
	v_cmp_lt_i32_e32 vcc, 5, v8
	v_cmp_eq_u32_e64 s[0:1], 3, v8
	v_lshrrev_b32_e32 v5, 2, v5
	s_or_b64 vcc, s[0:1], vcc
	v_addc_co_u32_e32 v5, vcc, 0, v5, vcc
	v_cmp_gt_i32_e32 vcc, 31, v6
	v_cndmask_b32_e32 v5, v7, v5, vcc
	v_cmp_ne_u32_e32 vcc, 0, v0
	v_cndmask_b32_e64 v0, 0, 1, vcc
	v_lshl_or_b32 v0, v0, 9, v7
	v_cmp_eq_u32_e32 vcc, s16, v6
	v_cndmask_b32_e32 v0, v5, v0, vcc
	v_lshrrev_b32_e32 v1, 16, v1
	v_and_or_b32 v0, v1, s10, v0
	v_and_b32_e32 v1, 0xffff, v4
	v_lshl_or_b32 v4, v0, 16, v1
	v_mov_b32_e32 v1, s2
	v_add_co_u32_e32 v0, vcc, s3, v2
	v_addc_co_u32_e32 v1, vcc, v3, v1, vcc
	global_store_dword v[0:1], v4, off
.LBB0_15:
	s_endpgm
	.section	.rodata,"a",@progbits
	.p2align	6, 0x0
	.amdhsa_kernel bluestein_single_fwd_len594_dim1_half_op_CI_CI
		.amdhsa_group_segment_fixed_size 2376
		.amdhsa_private_segment_fixed_size 0
		.amdhsa_kernarg_size 104
		.amdhsa_user_sgpr_count 6
		.amdhsa_user_sgpr_private_segment_buffer 1
		.amdhsa_user_sgpr_dispatch_ptr 0
		.amdhsa_user_sgpr_queue_ptr 0
		.amdhsa_user_sgpr_kernarg_segment_ptr 1
		.amdhsa_user_sgpr_dispatch_id 0
		.amdhsa_user_sgpr_flat_scratch_init 0
		.amdhsa_user_sgpr_private_segment_size 0
		.amdhsa_uses_dynamic_stack 0
		.amdhsa_system_sgpr_private_segment_wavefront_offset 0
		.amdhsa_system_sgpr_workgroup_id_x 1
		.amdhsa_system_sgpr_workgroup_id_y 0
		.amdhsa_system_sgpr_workgroup_id_z 0
		.amdhsa_system_sgpr_workgroup_info 0
		.amdhsa_system_vgpr_workitem_id 0
		.amdhsa_next_free_vgpr 115
		.amdhsa_next_free_sgpr 27
		.amdhsa_reserve_vcc 1
		.amdhsa_reserve_flat_scratch 0
		.amdhsa_float_round_mode_32 0
		.amdhsa_float_round_mode_16_64 0
		.amdhsa_float_denorm_mode_32 3
		.amdhsa_float_denorm_mode_16_64 3
		.amdhsa_dx10_clamp 1
		.amdhsa_ieee_mode 1
		.amdhsa_fp16_overflow 0
		.amdhsa_exception_fp_ieee_invalid_op 0
		.amdhsa_exception_fp_denorm_src 0
		.amdhsa_exception_fp_ieee_div_zero 0
		.amdhsa_exception_fp_ieee_overflow 0
		.amdhsa_exception_fp_ieee_underflow 0
		.amdhsa_exception_fp_ieee_inexact 0
		.amdhsa_exception_int_div_zero 0
	.end_amdhsa_kernel
	.text
.Lfunc_end0:
	.size	bluestein_single_fwd_len594_dim1_half_op_CI_CI, .Lfunc_end0-bluestein_single_fwd_len594_dim1_half_op_CI_CI
                                        ; -- End function
	.section	.AMDGPU.csdata,"",@progbits
; Kernel info:
; codeLenInByte = 15336
; NumSgprs: 31
; NumVgprs: 115
; ScratchSize: 0
; MemoryBound: 0
; FloatMode: 240
; IeeeMode: 1
; LDSByteSize: 2376 bytes/workgroup (compile time only)
; SGPRBlocks: 3
; VGPRBlocks: 28
; NumSGPRsForWavesPerEU: 31
; NumVGPRsForWavesPerEU: 115
; Occupancy: 2
; WaveLimiterHint : 1
; COMPUTE_PGM_RSRC2:SCRATCH_EN: 0
; COMPUTE_PGM_RSRC2:USER_SGPR: 6
; COMPUTE_PGM_RSRC2:TRAP_HANDLER: 0
; COMPUTE_PGM_RSRC2:TGID_X_EN: 1
; COMPUTE_PGM_RSRC2:TGID_Y_EN: 0
; COMPUTE_PGM_RSRC2:TGID_Z_EN: 0
; COMPUTE_PGM_RSRC2:TIDIG_COMP_CNT: 0
	.type	__hip_cuid_b41d3a88ab04f303,@object ; @__hip_cuid_b41d3a88ab04f303
	.section	.bss,"aw",@nobits
	.globl	__hip_cuid_b41d3a88ab04f303
__hip_cuid_b41d3a88ab04f303:
	.byte	0                               ; 0x0
	.size	__hip_cuid_b41d3a88ab04f303, 1

	.ident	"AMD clang version 19.0.0git (https://github.com/RadeonOpenCompute/llvm-project roc-6.4.0 25133 c7fe45cf4b819c5991fe208aaa96edf142730f1d)"
	.section	".note.GNU-stack","",@progbits
	.addrsig
	.addrsig_sym __hip_cuid_b41d3a88ab04f303
	.amdgpu_metadata
---
amdhsa.kernels:
  - .args:
      - .actual_access:  read_only
        .address_space:  global
        .offset:         0
        .size:           8
        .value_kind:     global_buffer
      - .actual_access:  read_only
        .address_space:  global
        .offset:         8
        .size:           8
        .value_kind:     global_buffer
      - .actual_access:  read_only
        .address_space:  global
        .offset:         16
        .size:           8
        .value_kind:     global_buffer
      - .actual_access:  read_only
        .address_space:  global
        .offset:         24
        .size:           8
        .value_kind:     global_buffer
      - .actual_access:  read_only
        .address_space:  global
        .offset:         32
        .size:           8
        .value_kind:     global_buffer
      - .offset:         40
        .size:           8
        .value_kind:     by_value
      - .address_space:  global
        .offset:         48
        .size:           8
        .value_kind:     global_buffer
      - .address_space:  global
        .offset:         56
        .size:           8
        .value_kind:     global_buffer
      - .address_space:  global
        .offset:         64
        .size:           8
        .value_kind:     global_buffer
      - .address_space:  global
        .offset:         72
        .size:           8
        .value_kind:     global_buffer
      - .offset:         80
        .size:           4
        .value_kind:     by_value
      - .address_space:  global
        .offset:         88
        .size:           8
        .value_kind:     global_buffer
      - .address_space:  global
        .offset:         96
        .size:           8
        .value_kind:     global_buffer
    .group_segment_fixed_size: 2376
    .kernarg_segment_align: 8
    .kernarg_segment_size: 104
    .language:       OpenCL C
    .language_version:
      - 2
      - 0
    .max_flat_workgroup_size: 99
    .name:           bluestein_single_fwd_len594_dim1_half_op_CI_CI
    .private_segment_fixed_size: 0
    .sgpr_count:     31
    .sgpr_spill_count: 0
    .symbol:         bluestein_single_fwd_len594_dim1_half_op_CI_CI.kd
    .uniform_work_group_size: 1
    .uses_dynamic_stack: false
    .vgpr_count:     115
    .vgpr_spill_count: 0
    .wavefront_size: 64
amdhsa.target:   amdgcn-amd-amdhsa--gfx906
amdhsa.version:
  - 1
  - 2
...

	.end_amdgpu_metadata
